;; amdgpu-corpus repo=zjin-lcf/HeCBench kind=compiled arch=gfx90a opt=O3
	.text
	.amdgcn_target "amdgcn-amd-amdhsa--gfx90a"
	.amdhsa_code_object_version 6
	.protected	_Z10comm_emptyP15HIP_vector_typeIfLj2EES1_S1_ ; -- Begin function _Z10comm_emptyP15HIP_vector_typeIfLj2EES1_S1_
	.globl	_Z10comm_emptyP15HIP_vector_typeIfLj2EES1_S1_
	.p2align	8
	.type	_Z10comm_emptyP15HIP_vector_typeIfLj2EES1_S1_,@function
_Z10comm_emptyP15HIP_vector_typeIfLj2EES1_S1_: ; @_Z10comm_emptyP15HIP_vector_typeIfLj2EES1_S1_
; %bb.0:
	s_endpgm
	.section	.rodata,"a",@progbits
	.p2align	6, 0x0
	.amdhsa_kernel _Z10comm_emptyP15HIP_vector_typeIfLj2EES1_S1_
		.amdhsa_group_segment_fixed_size 0
		.amdhsa_private_segment_fixed_size 0
		.amdhsa_kernarg_size 24
		.amdhsa_user_sgpr_count 6
		.amdhsa_user_sgpr_private_segment_buffer 1
		.amdhsa_user_sgpr_dispatch_ptr 0
		.amdhsa_user_sgpr_queue_ptr 0
		.amdhsa_user_sgpr_kernarg_segment_ptr 1
		.amdhsa_user_sgpr_dispatch_id 0
		.amdhsa_user_sgpr_flat_scratch_init 0
		.amdhsa_user_sgpr_kernarg_preload_length 0
		.amdhsa_user_sgpr_kernarg_preload_offset 0
		.amdhsa_user_sgpr_private_segment_size 0
		.amdhsa_uses_dynamic_stack 0
		.amdhsa_system_sgpr_private_segment_wavefront_offset 0
		.amdhsa_system_sgpr_workgroup_id_x 1
		.amdhsa_system_sgpr_workgroup_id_y 0
		.amdhsa_system_sgpr_workgroup_id_z 0
		.amdhsa_system_sgpr_workgroup_info 0
		.amdhsa_system_vgpr_workitem_id 0
		.amdhsa_next_free_vgpr 1
		.amdhsa_next_free_sgpr 0
		.amdhsa_accum_offset 4
		.amdhsa_reserve_vcc 0
		.amdhsa_reserve_flat_scratch 0
		.amdhsa_float_round_mode_32 0
		.amdhsa_float_round_mode_16_64 0
		.amdhsa_float_denorm_mode_32 3
		.amdhsa_float_denorm_mode_16_64 3
		.amdhsa_dx10_clamp 1
		.amdhsa_ieee_mode 1
		.amdhsa_fp16_overflow 0
		.amdhsa_tg_split 0
		.amdhsa_exception_fp_ieee_invalid_op 0
		.amdhsa_exception_fp_denorm_src 0
		.amdhsa_exception_fp_ieee_div_zero 0
		.amdhsa_exception_fp_ieee_overflow 0
		.amdhsa_exception_fp_ieee_underflow 0
		.amdhsa_exception_fp_ieee_inexact 0
		.amdhsa_exception_int_div_zero 0
	.end_amdhsa_kernel
	.text
.Lfunc_end0:
	.size	_Z10comm_emptyP15HIP_vector_typeIfLj2EES1_S1_, .Lfunc_end0-_Z10comm_emptyP15HIP_vector_typeIfLj2EES1_S1_
                                        ; -- End function
	.section	.AMDGPU.csdata,"",@progbits
; Kernel info:
; codeLenInByte = 4
; NumSgprs: 4
; NumVgprs: 0
; NumAgprs: 0
; TotalNumVgprs: 0
; ScratchSize: 0
; MemoryBound: 0
; FloatMode: 240
; IeeeMode: 1
; LDSByteSize: 0 bytes/workgroup (compile time only)
; SGPRBlocks: 0
; VGPRBlocks: 0
; NumSGPRsForWavesPerEU: 4
; NumVGPRsForWavesPerEU: 1
; AccumOffset: 4
; Occupancy: 8
; WaveLimiterHint : 0
; COMPUTE_PGM_RSRC2:SCRATCH_EN: 0
; COMPUTE_PGM_RSRC2:USER_SGPR: 6
; COMPUTE_PGM_RSRC2:TRAP_HANDLER: 0
; COMPUTE_PGM_RSRC2:TGID_X_EN: 1
; COMPUTE_PGM_RSRC2:TGID_Y_EN: 0
; COMPUTE_PGM_RSRC2:TGID_Z_EN: 0
; COMPUTE_PGM_RSRC2:TIDIG_COMP_CNT: 0
; COMPUTE_PGM_RSRC3_GFX90A:ACCUM_OFFSET: 0
; COMPUTE_PGM_RSRC3_GFX90A:TG_SPLIT: 0
	.text
	.protected	_Z9comm_initPK15HIP_vector_typeIfLj2EEPS0_S2_i ; -- Begin function _Z9comm_initPK15HIP_vector_typeIfLj2EEPS0_S2_i
	.globl	_Z9comm_initPK15HIP_vector_typeIfLj2EEPS0_S2_i
	.p2align	8
	.type	_Z9comm_initPK15HIP_vector_typeIfLj2EEPS0_S2_i,@function
_Z9comm_initPK15HIP_vector_typeIfLj2EEPS0_S2_i: ; @_Z9comm_initPK15HIP_vector_typeIfLj2EEPS0_S2_i
; %bb.0:
	s_load_dword s8, s[4:5], 0x18
	s_waitcnt lgkmcnt(0)
	s_cmp_lt_i32 s8, 1
	s_cbranch_scc1 .LBB1_7
; %bb.1:
	v_sqrt_f32_e32 v1, 0
	s_load_dwordx4 s[0:3], s[4:5], 0x0
	s_load_dwordx2 s[10:11], s[4:5], 0x10
	s_load_dword s7, s[4:5], 0x2c
	s_mov_b32 s9, 0
	s_waitcnt lgkmcnt(0)
	v_mov_b32_e32 v10, s1
	v_fmac_f32_e32 v1, 0, v1
	v_add_f32_e32 v1, v1, v1
	v_sub_f32_e32 v1, 0x40490fdb, v1
	v_div_scale_f32 v2, s[4:5], v1, v1, 1.0
	v_rcp_f32_e32 v3, v2
	s_and_b32 s4, s7, 0xffff
	s_mul_i32 s6, s6, s4
	v_add_u32_e32 v0, s6, v0
	v_fma_f32 v4, -v2, v3, 1.0
	v_fmac_f32_e32 v3, v4, v3
	v_div_scale_f32 v4, vcc, 1.0, v1, 1.0
	v_mul_f32_e32 v5, v4, v3
	v_fma_f32 v6, -v2, v5, v4
	v_fmac_f32_e32 v5, v6, v3
	v_fma_f32 v2, -v2, v5, v4
	v_div_fmas_f32 v2, v2, v3, v5
	v_div_fixup_f32 v1, v2, v1, 1.0
	s_mov_b32 s6, 0x3a83126f
	v_div_scale_f32 v2, s[4:5], v1, v1, s6
	v_rcp_f32_e32 v3, v2
	v_mul_lo_u32 v8, v0, s8
	s_lshl_b64 s[4:5], s[8:9], 3
	v_mul_lo_u32 v9, v8, s8
	v_fma_f32 v0, -v2, v3, 1.0
	v_fmac_f32_e32 v3, v0, v3
	v_div_scale_f32 v0, vcc, s6, v1, s6
	v_mul_f32_e32 v4, v0, v3
	v_fma_f32 v5, -v2, v4, v0
	v_fmac_f32_e32 v4, v5, v3
	v_fma_f32 v0, -v2, v4, v0
	v_div_fmas_f32 v0, v0, v3, v4
	v_div_fixup_f32 v0, v0, v1, s6
	s_add_u32 s6, s10, 4
	v_mov_b32_e32 v1, v0
	s_addc_u32 s7, s11, 0
	v_mov_b32_e32 v11, s3
	v_mov_b32_e32 v12, v9
.LBB1_2:                                ; =>This Loop Header: Depth=1
                                        ;     Child Loop BB1_3 Depth 2
                                        ;       Child Loop BB1_4 Depth 3
	v_add_u32_e32 v2, s9, v8
	v_mul_lo_u32 v13, v2, s8
	s_mov_b64 s[12:13], s[10:11]
	v_mov_b32_e32 v14, v9
	s_mov_b32 s1, 0
.LBB1_3:                                ;   Parent Loop BB1_2 Depth=1
                                        ; =>  This Loop Header: Depth=2
                                        ;       Child Loop BB1_4 Depth 3
	v_mov_b32_e32 v2, 0
	s_mov_b32 s3, 0
	s_mov_b64 s[14:15], s[6:7]
	s_mov_b64 s[16:17], s[12:13]
	v_mov_b32_e32 v4, v14
	v_mov_b32_e32 v3, v2
.LBB1_4:                                ;   Parent Loop BB1_2 Depth=1
                                        ;     Parent Loop BB1_3 Depth=2
                                        ; =>    This Inner Loop Header: Depth=3
	v_ashrrev_i32_e32 v5, 31, v4
	v_add_u32_e32 v6, s3, v12
	v_lshlrev_b64 v[16:17], 3, v[4:5]
	v_ashrrev_i32_e32 v7, 31, v6
	v_add_co_u32_e32 v16, vcc, s0, v16
	v_addc_co_u32_e32 v17, vcc, v10, v17, vcc
	v_lshlrev_b64 v[6:7], 3, v[6:7]
	v_add_co_u32_e32 v6, vcc, s0, v6
	v_addc_co_u32_e32 v7, vcc, v10, v7, vcc
	global_load_dwordx2 v[18:19], v[6:7], off
	global_load_dwordx2 v[20:21], v[16:17], off
	s_add_u32 s18, s14, -4
	s_load_dwordx2 s[20:21], s[16:17], 0x0
	s_addc_u32 s19, s15, -1
	s_load_dwordx2 s[18:19], s[18:19], 0x0
	s_add_i32 s3, s3, 1
	s_add_u32 s16, s16, s4
	s_addc_u32 s17, s17, s5
	s_add_u32 s14, s14, 8
	s_addc_u32 s15, s15, 0
	v_add_u32_e32 v4, s8, v4
	s_cmp_eq_u32 s8, s3
	s_waitcnt vmcnt(1) lgkmcnt(0)
	v_pk_mul_f32 v[6:7], v[18:19], s[20:21] op_sel_hi:[0,1]
	v_pk_mul_f32 v[16:17], v[18:19], s[20:21] op_sel:[1,0]
	s_waitcnt vmcnt(0)
	v_pk_fma_f32 v[6:7], s[18:19], v[20:21], v[6:7] op_sel_hi:[0,1,1] neg_lo:[0,0,1] neg_hi:[0,0,1]
	v_pk_fma_f32 v[16:17], s[18:19], v[20:21], v[16:17] op_sel:[1,0,0] neg_lo:[0,0,1] neg_hi:[0,0,1]
	v_pk_add_f32 v[6:7], v[2:3], v[6:7] op_sel:[0,1] op_sel_hi:[1,0]
	v_pk_add_f32 v[2:3], v[6:7], v[16:17]
	v_pk_add_f32 v[6:7], v[6:7], v[16:17] neg_lo:[0,1] neg_hi:[0,1]
	v_mov_b32_e32 v3, v7
	s_cbranch_scc0 .LBB1_4
; %bb.5:                                ;   in Loop: Header=BB1_3 Depth=2
	v_add_u32_e32 v4, s1, v13
	v_ashrrev_i32_e32 v5, 31, v4
	v_lshlrev_b64 v[4:5], 3, v[4:5]
	v_add_co_u32_e32 v4, vcc, s2, v4
	v_addc_co_u32_e32 v5, vcc, v11, v5, vcc
	global_load_dwordx2 v[16:17], v[4:5], off
	s_add_i32 s1, s1, 1
	v_mov_b32_e32 v3, v7
	s_add_u32 s12, s12, 8
	s_addc_u32 s13, s13, 0
	s_cmp_eq_u32 s1, s8
	v_add_u32_e32 v14, 1, v14
	s_waitcnt vmcnt(0)
	v_pk_fma_f32 v[6:7], v[0:1], v[2:3], v[16:17]
	v_pk_fma_f32 v[2:3], v[0:1], v[2:3], v[16:17] neg_lo:[1,0,0] neg_hi:[1,0,0]
	v_mov_b32_e32 v7, v3
	global_store_dwordx2 v[4:5], v[6:7], off
	s_cbranch_scc0 .LBB1_3
; %bb.6:                                ;   in Loop: Header=BB1_2 Depth=1
	s_add_i32 s9, s9, 1
	s_add_u32 s6, s6, s4
	s_addc_u32 s7, s7, s5
	s_cmp_eq_u32 s9, s8
	v_add_u32_e32 v12, s8, v12
	s_cbranch_scc0 .LBB1_2
.LBB1_7:
	s_endpgm
	.section	.rodata,"a",@progbits
	.p2align	6, 0x0
	.amdhsa_kernel _Z9comm_initPK15HIP_vector_typeIfLj2EEPS0_S2_i
		.amdhsa_group_segment_fixed_size 0
		.amdhsa_private_segment_fixed_size 0
		.amdhsa_kernarg_size 288
		.amdhsa_user_sgpr_count 6
		.amdhsa_user_sgpr_private_segment_buffer 1
		.amdhsa_user_sgpr_dispatch_ptr 0
		.amdhsa_user_sgpr_queue_ptr 0
		.amdhsa_user_sgpr_kernarg_segment_ptr 1
		.amdhsa_user_sgpr_dispatch_id 0
		.amdhsa_user_sgpr_flat_scratch_init 0
		.amdhsa_user_sgpr_kernarg_preload_length 0
		.amdhsa_user_sgpr_kernarg_preload_offset 0
		.amdhsa_user_sgpr_private_segment_size 0
		.amdhsa_uses_dynamic_stack 0
		.amdhsa_system_sgpr_private_segment_wavefront_offset 0
		.amdhsa_system_sgpr_workgroup_id_x 1
		.amdhsa_system_sgpr_workgroup_id_y 0
		.amdhsa_system_sgpr_workgroup_id_z 0
		.amdhsa_system_sgpr_workgroup_info 0
		.amdhsa_system_vgpr_workitem_id 0
		.amdhsa_next_free_vgpr 22
		.amdhsa_next_free_sgpr 22
		.amdhsa_accum_offset 24
		.amdhsa_reserve_vcc 1
		.amdhsa_reserve_flat_scratch 0
		.amdhsa_float_round_mode_32 0
		.amdhsa_float_round_mode_16_64 0
		.amdhsa_float_denorm_mode_32 3
		.amdhsa_float_denorm_mode_16_64 3
		.amdhsa_dx10_clamp 1
		.amdhsa_ieee_mode 1
		.amdhsa_fp16_overflow 0
		.amdhsa_tg_split 0
		.amdhsa_exception_fp_ieee_invalid_op 0
		.amdhsa_exception_fp_denorm_src 0
		.amdhsa_exception_fp_ieee_div_zero 0
		.amdhsa_exception_fp_ieee_overflow 0
		.amdhsa_exception_fp_ieee_underflow 0
		.amdhsa_exception_fp_ieee_inexact 0
		.amdhsa_exception_int_div_zero 0
	.end_amdhsa_kernel
	.text
.Lfunc_end1:
	.size	_Z9comm_initPK15HIP_vector_typeIfLj2EEPS0_S2_i, .Lfunc_end1-_Z9comm_initPK15HIP_vector_typeIfLj2EEPS0_S2_i
                                        ; -- End function
	.section	.AMDGPU.csdata,"",@progbits
; Kernel info:
; codeLenInByte = 636
; NumSgprs: 26
; NumVgprs: 22
; NumAgprs: 0
; TotalNumVgprs: 22
; ScratchSize: 0
; MemoryBound: 0
; FloatMode: 240
; IeeeMode: 1
; LDSByteSize: 0 bytes/workgroup (compile time only)
; SGPRBlocks: 3
; VGPRBlocks: 2
; NumSGPRsForWavesPerEU: 26
; NumVGPRsForWavesPerEU: 22
; AccumOffset: 24
; Occupancy: 8
; WaveLimiterHint : 0
; COMPUTE_PGM_RSRC2:SCRATCH_EN: 0
; COMPUTE_PGM_RSRC2:USER_SGPR: 6
; COMPUTE_PGM_RSRC2:TRAP_HANDLER: 0
; COMPUTE_PGM_RSRC2:TGID_X_EN: 1
; COMPUTE_PGM_RSRC2:TGID_Y_EN: 0
; COMPUTE_PGM_RSRC2:TGID_Z_EN: 0
; COMPUTE_PGM_RSRC2:TIDIG_COMP_CNT: 0
; COMPUTE_PGM_RSRC3_GFX90A:ACCUM_OFFSET: 5
; COMPUTE_PGM_RSRC3_GFX90A:TG_SPLIT: 0
	.text
	.protected	_Z13comm_refactorPK15HIP_vector_typeIfLj2EEPS0_S2_i ; -- Begin function _Z13comm_refactorPK15HIP_vector_typeIfLj2EEPS0_S2_i
	.globl	_Z13comm_refactorPK15HIP_vector_typeIfLj2EEPS0_S2_i
	.p2align	8
	.type	_Z13comm_refactorPK15HIP_vector_typeIfLj2EEPS0_S2_i,@function
_Z13comm_refactorPK15HIP_vector_typeIfLj2EEPS0_S2_i: ; @_Z13comm_refactorPK15HIP_vector_typeIfLj2EEPS0_S2_i
; %bb.0:
	s_load_dword s22, s[4:5], 0x18
	s_waitcnt lgkmcnt(0)
	s_cmp_lt_i32 s22, 1
	s_cbranch_scc1 .LBB2_7
; %bb.1:
	v_sqrt_f32_e32 v1, 0
	s_load_dword s7, s[4:5], 0x2c
	s_load_dwordx4 s[0:3], s[4:5], 0x0
	s_load_dwordx2 s[8:9], s[4:5], 0x10
	v_fmac_f32_e32 v1, 0, v1
	v_add_f32_e32 v1, v1, v1
	v_sub_f32_e32 v1, 0x40490fdb, v1
	v_div_scale_f32 v2, s[4:5], v1, v1, 1.0
	v_rcp_f32_e32 v3, v2
	s_waitcnt lgkmcnt(0)
	s_and_b32 s7, s7, 0xffff
	s_mul_i32 s6, s6, s7
	s_mov_b32 s7, 0x3a83126f
	v_fma_f32 v4, -v2, v3, 1.0
	v_fmac_f32_e32 v3, v4, v3
	v_div_scale_f32 v4, vcc, 1.0, v1, 1.0
	v_mul_f32_e32 v5, v4, v3
	v_fma_f32 v6, -v2, v5, v4
	v_fmac_f32_e32 v5, v6, v3
	v_fma_f32 v2, -v2, v5, v4
	v_div_fmas_f32 v2, v2, v3, v5
	v_div_fixup_f32 v1, v2, v1, 1.0
	v_div_scale_f32 v2, s[4:5], v1, v1, s7
	v_rcp_f32_e32 v3, v2
	v_add_u32_e32 v0, s6, v0
	s_mul_i32 s6, s22, s22
	v_mul_lo_u32 v10, s6, v0
	v_fma_f32 v0, -v2, v3, 1.0
	v_fmac_f32_e32 v3, v0, v3
	v_div_scale_f32 v0, vcc, s7, v1, s7
	v_mul_f32_e32 v4, v0, v3
	v_fma_f32 v5, -v2, v4, v0
	v_fmac_f32_e32 v4, v5, v3
	v_fma_f32 v0, -v2, v4, v0
	s_mov_b32 s5, 0
	v_div_fmas_f32 v0, v0, v3, v4
	s_add_u32 s23, s8, 4
	v_div_fixup_f32 v12, v0, v1, s7
	s_addc_u32 s24, s9, 0
	s_lshl_b32 s6, s22, 1
	s_mov_b32 s7, s5
	s_add_i32 s25, s6, 2
	s_lshl_b64 s[10:11], s[6:7], 2
	s_add_u32 s26, s0, 4
	s_addc_u32 s4, s1, 0
	s_ashr_i32 s7, s6, 31
	v_lshlrev_b32_e32 v11, 1, v10
	s_lshl_b64 s[0:1], s[6:7], 2
	v_mov_b32_e32 v13, s4
	v_mov_b32_e32 v14, s1
	;; [unrolled: 1-line block ×4, first 2 shown]
	s_mov_b32 s12, s5
	s_mov_b32 s1, 0
.LBB2_2:                                ; =>This Loop Header: Depth=1
                                        ;     Child Loop BB2_3 Depth 2
                                        ;       Child Loop BB2_4 Depth 3
	s_mov_b32 s13, s5
	v_ashrrev_i32_e32 v1, 31, v0
	s_lshl_b64 s[14:15], s[12:13], 2
	v_lshlrev_b64 v[2:3], 2, v[0:1]
	s_add_u32 s14, s23, s14
	v_add_co_u32_e32 v2, vcc, s26, v2
	s_mul_i32 s3, s1, s22
	s_addc_u32 s15, s24, s15
	v_addc_co_u32_e32 v3, vcc, v13, v3, vcc
	v_add_u32_e32 v1, s3, v10
	v_mov_b32_e32 v4, v11
	s_mov_b64 s[16:17], s[8:9]
	s_mov_b32 s3, s5
.LBB2_3:                                ;   Parent Loop BB2_2 Depth=1
                                        ; =>  This Loop Header: Depth=2
                                        ;       Child Loop BB2_4 Depth 3
	v_ashrrev_i32_e32 v5, 31, v4
	v_lshlrev_b64 v[6:7], 2, v[4:5]
	v_add_co_u32_e32 v6, vcc, s26, v6
	s_mov_b32 s4, 0
	v_addc_co_u32_e32 v7, vcc, v13, v7, vcc
	v_mov_b32_e32 v5, 0
	v_pk_mov_b32 v[8:9], v[2:3], v[2:3] op_sel:[0,1]
	s_mov_b64 s[18:19], s[14:15]
	s_mov_b64 s[20:21], s[16:17]
	s_mov_b32 s7, s4
	v_mov_b32_e32 v16, 0
.LBB2_4:                                ;   Parent Loop BB2_2 Depth=1
                                        ;     Parent Loop BB2_3 Depth=2
                                        ; =>    This Inner Loop Header: Depth=3
	global_load_dwordx2 v[18:19], v[6:7], off offset:-4
	global_load_dwordx2 v[20:21], v[8:9], off offset:-4
	s_add_u32 s28, s18, -4
	s_addc_u32 s29, s19, -1
	s_lshl_b64 s[30:31], s[4:5], 2
	s_add_u32 s30, s23, s30
	s_load_dwordx2 s[28:29], s[28:29], 0x0
	s_addc_u32 s31, s24, s31
	s_load_dword s13, s[20:21], 0x0
	s_load_dword s27, s[30:31], 0x0
	s_add_i32 s7, s7, 1
	s_add_i32 s4, s4, s25
	s_add_u32 s20, s20, s10
	v_add_co_u32_e32 v6, vcc, s0, v6
	s_addc_u32 s21, s21, s11
	v_addc_co_u32_e32 v7, vcc, v7, v14, vcc
	s_add_u32 s18, s18, 8
	v_add_co_u32_e32 v8, vcc, 8, v8
	s_addc_u32 s19, s19, 0
	v_addc_co_u32_e32 v9, vcc, 0, v9, vcc
	s_cmp_eq_u32 s22, s7
	s_waitcnt vmcnt(1) lgkmcnt(0)
	v_fmac_f32_e32 v16, s28, v18
	v_fmac_f32_e32 v5, s28, v19
	s_waitcnt vmcnt(0)
	v_fma_f32 v16, -v20, s13, v16
	v_fma_f32 v5, -v20, s27, v5
	;; [unrolled: 1-line block ×3, first 2 shown]
	v_fmac_f32_e32 v5, s29, v18
	v_fmac_f32_e32 v16, s27, v21
	v_fma_f32 v5, -s13, v21, v5
	s_cbranch_scc0 .LBB2_4
; %bb.5:                                ;   in Loop: Header=BB2_3 Depth=2
	v_add_lshl_u32 v6, v1, s3, 1
	v_ashrrev_i32_e32 v7, 31, v6
	v_lshlrev_b64 v[6:7], 2, v[6:7]
	v_add_co_u32_e32 v6, vcc, s2, v6
	v_addc_co_u32_e32 v7, vcc, v15, v7, vcc
	global_load_dwordx2 v[8:9], v[6:7], off
	s_add_i32 s3, s3, 1
	s_add_u32 s16, s16, 8
	s_addc_u32 s17, s17, 0
	s_cmp_eq_u32 s3, s22
	v_add_u32_e32 v4, 2, v4
	s_waitcnt vmcnt(0)
	v_fma_f32 v9, -v12, v16, v9
	v_fmac_f32_e32 v8, v12, v5
	global_store_dwordx2 v[6:7], v[8:9], off
	s_cbranch_scc0 .LBB2_3
; %bb.6:                                ;   in Loop: Header=BB2_2 Depth=1
	s_add_i32 s1, s1, 1
	s_add_i32 s12, s12, s6
	s_cmp_eq_u32 s1, s22
	v_add_u32_e32 v0, s6, v0
	s_cbranch_scc0 .LBB2_2
.LBB2_7:
	s_endpgm
	.section	.rodata,"a",@progbits
	.p2align	6, 0x0
	.amdhsa_kernel _Z13comm_refactorPK15HIP_vector_typeIfLj2EEPS0_S2_i
		.amdhsa_group_segment_fixed_size 0
		.amdhsa_private_segment_fixed_size 0
		.amdhsa_kernarg_size 288
		.amdhsa_user_sgpr_count 6
		.amdhsa_user_sgpr_private_segment_buffer 1
		.amdhsa_user_sgpr_dispatch_ptr 0
		.amdhsa_user_sgpr_queue_ptr 0
		.amdhsa_user_sgpr_kernarg_segment_ptr 1
		.amdhsa_user_sgpr_dispatch_id 0
		.amdhsa_user_sgpr_flat_scratch_init 0
		.amdhsa_user_sgpr_kernarg_preload_length 0
		.amdhsa_user_sgpr_kernarg_preload_offset 0
		.amdhsa_user_sgpr_private_segment_size 0
		.amdhsa_uses_dynamic_stack 0
		.amdhsa_system_sgpr_private_segment_wavefront_offset 0
		.amdhsa_system_sgpr_workgroup_id_x 1
		.amdhsa_system_sgpr_workgroup_id_y 0
		.amdhsa_system_sgpr_workgroup_id_z 0
		.amdhsa_system_sgpr_workgroup_info 0
		.amdhsa_system_vgpr_workitem_id 0
		.amdhsa_next_free_vgpr 22
		.amdhsa_next_free_sgpr 32
		.amdhsa_accum_offset 24
		.amdhsa_reserve_vcc 1
		.amdhsa_reserve_flat_scratch 0
		.amdhsa_float_round_mode_32 0
		.amdhsa_float_round_mode_16_64 0
		.amdhsa_float_denorm_mode_32 3
		.amdhsa_float_denorm_mode_16_64 3
		.amdhsa_dx10_clamp 1
		.amdhsa_ieee_mode 1
		.amdhsa_fp16_overflow 0
		.amdhsa_tg_split 0
		.amdhsa_exception_fp_ieee_invalid_op 0
		.amdhsa_exception_fp_denorm_src 0
		.amdhsa_exception_fp_ieee_div_zero 0
		.amdhsa_exception_fp_ieee_overflow 0
		.amdhsa_exception_fp_ieee_underflow 0
		.amdhsa_exception_fp_ieee_inexact 0
		.amdhsa_exception_int_div_zero 0
	.end_amdhsa_kernel
	.text
.Lfunc_end2:
	.size	_Z13comm_refactorPK15HIP_vector_typeIfLj2EEPS0_S2_i, .Lfunc_end2-_Z13comm_refactorPK15HIP_vector_typeIfLj2EEPS0_S2_i
                                        ; -- End function
	.section	.AMDGPU.csdata,"",@progbits
; Kernel info:
; codeLenInByte = 700
; NumSgprs: 36
; NumVgprs: 22
; NumAgprs: 0
; TotalNumVgprs: 22
; ScratchSize: 0
; MemoryBound: 0
; FloatMode: 240
; IeeeMode: 1
; LDSByteSize: 0 bytes/workgroup (compile time only)
; SGPRBlocks: 4
; VGPRBlocks: 2
; NumSGPRsForWavesPerEU: 36
; NumVGPRsForWavesPerEU: 22
; AccumOffset: 24
; Occupancy: 8
; WaveLimiterHint : 0
; COMPUTE_PGM_RSRC2:SCRATCH_EN: 0
; COMPUTE_PGM_RSRC2:USER_SGPR: 6
; COMPUTE_PGM_RSRC2:TRAP_HANDLER: 0
; COMPUTE_PGM_RSRC2:TGID_X_EN: 1
; COMPUTE_PGM_RSRC2:TGID_Y_EN: 0
; COMPUTE_PGM_RSRC2:TGID_Z_EN: 0
; COMPUTE_PGM_RSRC2:TIDIG_COMP_CNT: 0
; COMPUTE_PGM_RSRC3_GFX90A:ACCUM_OFFSET: 5
; COMPUTE_PGM_RSRC3_GFX90A:TG_SPLIT: 0
	.text
	.protected	_Z26comm_refactor_direct_storePK15HIP_vector_typeIfLj2EEPS0_S2_i ; -- Begin function _Z26comm_refactor_direct_storePK15HIP_vector_typeIfLj2EEPS0_S2_i
	.globl	_Z26comm_refactor_direct_storePK15HIP_vector_typeIfLj2EEPS0_S2_i
	.p2align	8
	.type	_Z26comm_refactor_direct_storePK15HIP_vector_typeIfLj2EEPS0_S2_i,@function
_Z26comm_refactor_direct_storePK15HIP_vector_typeIfLj2EEPS0_S2_i: ; @_Z26comm_refactor_direct_storePK15HIP_vector_typeIfLj2EEPS0_S2_i
; %bb.0:
	s_load_dword s22, s[4:5], 0x18
	s_waitcnt lgkmcnt(0)
	s_cmp_lt_i32 s22, 1
	s_cbranch_scc1 .LBB3_7
; %bb.1:
	s_load_dword s7, s[4:5], 0x2c
	s_load_dwordx2 s[8:9], s[4:5], 0x10
	s_load_dwordx4 s[0:3], s[4:5], 0x0
	s_mul_i32 s4, s22, s22
	s_waitcnt lgkmcnt(0)
	s_and_b32 s5, s7, 0xffff
	s_mul_i32 s6, s6, s5
	s_add_u32 s23, s8, 4
	v_add_u32_e32 v0, s6, v0
	s_mov_b32 s7, 0
	v_mul_lo_u32 v14, s4, v0
	s_addc_u32 s24, s9, 0
	s_lshl_b32 s4, s22, 1
	s_mov_b32 s5, s7
	s_add_i32 s25, s4, 2
	s_lshl_b64 s[10:11], s[4:5], 2
	s_add_u32 s26, s0, 4
	s_addc_u32 s6, s1, 0
	s_ashr_i32 s5, s4, 31
	v_lshlrev_b32_e32 v15, 1, v14
	s_lshl_b64 s[0:1], s[4:5], 2
	v_mov_b32_e32 v16, s6
	v_mov_b32_e32 v17, s3
	;; [unrolled: 1-line block ×4, first 2 shown]
	s_mov_b32 s12, s7
	s_mov_b32 s1, 0
.LBB3_2:                                ; =>This Loop Header: Depth=1
                                        ;     Child Loop BB3_3 Depth 2
                                        ;       Child Loop BB3_4 Depth 3
	s_mov_b32 s13, s7
	v_ashrrev_i32_e32 v1, 31, v0
	s_lshl_b64 s[14:15], s[12:13], 2
	v_lshlrev_b64 v[2:3], 2, v[0:1]
	s_add_u32 s14, s23, s14
	v_add_co_u32_e32 v2, vcc, s26, v2
	s_mul_i32 s3, s1, s22
	s_addc_u32 s15, s24, s15
	v_addc_co_u32_e32 v3, vcc, v16, v3, vcc
	v_add_u32_e32 v1, s3, v14
	v_mov_b32_e32 v4, v15
	s_mov_b64 s[16:17], s[8:9]
	s_mov_b32 s3, s7
.LBB3_3:                                ;   Parent Loop BB3_2 Depth=1
                                        ; =>  This Loop Header: Depth=2
                                        ;       Child Loop BB3_4 Depth 3
	v_add_lshl_u32 v6, v1, s3, 1
	v_ashrrev_i32_e32 v7, 31, v6
	v_lshlrev_b64 v[6:7], 2, v[6:7]
	v_add_co_u32_e32 v6, vcc, s2, v6
	v_addc_co_u32_e32 v7, vcc, v17, v7, vcc
	global_load_dwordx2 v[8:9], v[6:7], off
	v_ashrrev_i32_e32 v5, 31, v4
	v_lshlrev_b64 v[10:11], 2, v[4:5]
	v_add_co_u32_e32 v10, vcc, s26, v10
	s_mov_b32 s6, 0
	v_addc_co_u32_e32 v11, vcc, v16, v11, vcc
	v_pk_mov_b32 v[12:13], v[2:3], v[2:3] op_sel:[0,1]
	s_mov_b64 s[18:19], s[14:15]
	s_mov_b64 s[20:21], s[16:17]
	s_mov_b32 s5, s6
.LBB3_4:                                ;   Parent Loop BB3_2 Depth=1
                                        ;     Parent Loop BB3_3 Depth=2
                                        ; =>    This Inner Loop Header: Depth=3
	global_load_dwordx2 v[20:21], v[10:11], off offset:-4
	global_load_dwordx2 v[22:23], v[12:13], off offset:-4
	s_add_u32 s28, s18, -4
	s_addc_u32 s29, s19, -1
	s_lshl_b64 s[30:31], s[6:7], 2
	s_add_u32 s30, s23, s30
	s_load_dwordx2 s[28:29], s[28:29], 0x0
	s_addc_u32 s31, s24, s31
	s_load_dword s13, s[20:21], 0x0
	s_load_dword s27, s[30:31], 0x0
	s_add_i32 s5, s5, 1
	s_add_i32 s6, s6, s25
	s_add_u32 s20, s20, s10
	v_add_co_u32_e32 v10, vcc, s0, v10
	s_addc_u32 s21, s21, s11
	v_addc_co_u32_e32 v11, vcc, v11, v18, vcc
	s_add_u32 s18, s18, 8
	v_add_co_u32_e32 v12, vcc, 8, v12
	s_addc_u32 s19, s19, 0
	v_addc_co_u32_e32 v13, vcc, 0, v13, vcc
	s_cmp_eq_u32 s22, s5
	s_waitcnt vmcnt(1) lgkmcnt(0)
	v_fmac_f32_e32 v8, s28, v21
	v_fma_f32 v5, -s28, v20, v9
	s_waitcnt vmcnt(0)
	v_fma_f32 v8, -v22, s27, v8
	v_fmac_f32_e32 v5, s13, v22
	v_fmac_f32_e32 v8, s29, v20
	;; [unrolled: 1-line block ×3, first 2 shown]
	v_fma_f32 v8, -v23, s13, v8
	v_fma_f32 v9, -s27, v23, v5
	s_cbranch_scc0 .LBB3_4
; %bb.5:                                ;   in Loop: Header=BB3_3 Depth=2
	s_add_i32 s3, s3, 1
	s_add_u32 s16, s16, 8
	s_addc_u32 s17, s17, 0
	s_cmp_eq_u32 s3, s22
	v_add_u32_e32 v4, 2, v4
	global_store_dwordx2 v[6:7], v[8:9], off
	s_cbranch_scc0 .LBB3_3
; %bb.6:                                ;   in Loop: Header=BB3_2 Depth=1
	s_add_i32 s1, s1, 1
	s_add_i32 s12, s12, s4
	s_cmp_eq_u32 s1, s22
	v_add_u32_e32 v0, s4, v0
	s_cbranch_scc0 .LBB3_2
.LBB3_7:
	s_endpgm
	.section	.rodata,"a",@progbits
	.p2align	6, 0x0
	.amdhsa_kernel _Z26comm_refactor_direct_storePK15HIP_vector_typeIfLj2EEPS0_S2_i
		.amdhsa_group_segment_fixed_size 0
		.amdhsa_private_segment_fixed_size 0
		.amdhsa_kernarg_size 288
		.amdhsa_user_sgpr_count 6
		.amdhsa_user_sgpr_private_segment_buffer 1
		.amdhsa_user_sgpr_dispatch_ptr 0
		.amdhsa_user_sgpr_queue_ptr 0
		.amdhsa_user_sgpr_kernarg_segment_ptr 1
		.amdhsa_user_sgpr_dispatch_id 0
		.amdhsa_user_sgpr_flat_scratch_init 0
		.amdhsa_user_sgpr_kernarg_preload_length 0
		.amdhsa_user_sgpr_kernarg_preload_offset 0
		.amdhsa_user_sgpr_private_segment_size 0
		.amdhsa_uses_dynamic_stack 0
		.amdhsa_system_sgpr_private_segment_wavefront_offset 0
		.amdhsa_system_sgpr_workgroup_id_x 1
		.amdhsa_system_sgpr_workgroup_id_y 0
		.amdhsa_system_sgpr_workgroup_id_z 0
		.amdhsa_system_sgpr_workgroup_info 0
		.amdhsa_system_vgpr_workitem_id 0
		.amdhsa_next_free_vgpr 24
		.amdhsa_next_free_sgpr 32
		.amdhsa_accum_offset 24
		.amdhsa_reserve_vcc 1
		.amdhsa_reserve_flat_scratch 0
		.amdhsa_float_round_mode_32 0
		.amdhsa_float_round_mode_16_64 0
		.amdhsa_float_denorm_mode_32 3
		.amdhsa_float_denorm_mode_16_64 3
		.amdhsa_dx10_clamp 1
		.amdhsa_ieee_mode 1
		.amdhsa_fp16_overflow 0
		.amdhsa_tg_split 0
		.amdhsa_exception_fp_ieee_invalid_op 0
		.amdhsa_exception_fp_denorm_src 0
		.amdhsa_exception_fp_ieee_div_zero 0
		.amdhsa_exception_fp_ieee_overflow 0
		.amdhsa_exception_fp_ieee_underflow 0
		.amdhsa_exception_fp_ieee_inexact 0
		.amdhsa_exception_int_div_zero 0
	.end_amdhsa_kernel
	.text
.Lfunc_end3:
	.size	_Z26comm_refactor_direct_storePK15HIP_vector_typeIfLj2EEPS0_S2_i, .Lfunc_end3-_Z26comm_refactor_direct_storePK15HIP_vector_typeIfLj2EEPS0_S2_i
                                        ; -- End function
	.section	.AMDGPU.csdata,"",@progbits
; Kernel info:
; codeLenInByte = 504
; NumSgprs: 36
; NumVgprs: 24
; NumAgprs: 0
; TotalNumVgprs: 24
; ScratchSize: 0
; MemoryBound: 0
; FloatMode: 240
; IeeeMode: 1
; LDSByteSize: 0 bytes/workgroup (compile time only)
; SGPRBlocks: 4
; VGPRBlocks: 2
; NumSGPRsForWavesPerEU: 36
; NumVGPRsForWavesPerEU: 24
; AccumOffset: 24
; Occupancy: 8
; WaveLimiterHint : 0
; COMPUTE_PGM_RSRC2:SCRATCH_EN: 0
; COMPUTE_PGM_RSRC2:USER_SGPR: 6
; COMPUTE_PGM_RSRC2:TRAP_HANDLER: 0
; COMPUTE_PGM_RSRC2:TGID_X_EN: 1
; COMPUTE_PGM_RSRC2:TGID_Y_EN: 0
; COMPUTE_PGM_RSRC2:TGID_Z_EN: 0
; COMPUTE_PGM_RSRC2:TIDIG_COMP_CNT: 0
; COMPUTE_PGM_RSRC3_GFX90A:ACCUM_OFFSET: 5
; COMPUTE_PGM_RSRC3_GFX90A:TG_SPLIT: 0
	.text
	.protected	_Z16comm_aosoa_naivePK15HIP_vector_typeIfLj2EEPS0_S2_i ; -- Begin function _Z16comm_aosoa_naivePK15HIP_vector_typeIfLj2EEPS0_S2_i
	.globl	_Z16comm_aosoa_naivePK15HIP_vector_typeIfLj2EEPS0_S2_i
	.p2align	8
	.type	_Z16comm_aosoa_naivePK15HIP_vector_typeIfLj2EEPS0_S2_i,@function
_Z16comm_aosoa_naivePK15HIP_vector_typeIfLj2EEPS0_S2_i: ; @_Z16comm_aosoa_naivePK15HIP_vector_typeIfLj2EEPS0_S2_i
; %bb.0:
	s_load_dword s8, s[4:5], 0x18
	s_waitcnt lgkmcnt(0)
	s_cmp_lt_i32 s8, 1
	s_cbranch_scc1 .LBB4_7
; %bb.1:
	s_load_dword s7, s[4:5], 0x2c
	s_load_dwordx4 s[0:3], s[4:5], 0x0
	s_load_dwordx2 s[10:11], s[4:5], 0x10
	s_mul_i32 s22, s8, s8
	s_mov_b32 s5, 0
	s_waitcnt lgkmcnt(0)
	s_and_b32 s4, s7, 0xffff
	s_mul_i32 s6, s6, s4
	v_add_u32_e32 v0, s6, v0
	v_ashrrev_i32_e32 v1, 31, v0
	v_lshrrev_b32_e32 v1, 29, v1
	v_add_u32_e32 v1, v0, v1
	s_lshl_b32 s4, s22, 4
	v_ashrrev_i32_e32 v4, 3, v1
	v_and_b32_e32 v1, -8, v1
	v_sub_u32_e32 v1, v0, v1
	v_mul_lo_u32 v3, s4, v4
	s_mov_b32 s9, s5
	s_add_i32 s4, s4, -8
	s_lshl_b32 s23, s8, 4
	v_add_u32_e32 v2, 8, v1
	s_lshl_b64 s[6:7], s[8:9], 2
	v_mul_lo_u32 v4, v4, s4
	v_mov_b32_e32 v5, s1
	v_mov_b32_e32 v6, s3
	;; [unrolled: 1-line block ×3, first 2 shown]
	s_mov_b64 s[12:13], s[10:11]
	s_mov_b32 s1, s22
	s_mov_b32 s3, 0
.LBB4_2:                                ; =>This Loop Header: Depth=1
                                        ;     Child Loop BB4_3 Depth 2
                                        ;       Child Loop BB4_4 Depth 3
	s_mul_i32 s9, s3, s8
	v_mov_b32_e32 v8, v0
	s_mov_b64 s[14:15], s[10:11]
	s_mov_b32 s24, s22
	s_mov_b32 s25, s5
.LBB4_3:                                ;   Parent Loop BB4_2 Depth=1
                                        ; =>  This Loop Header: Depth=2
                                        ;       Child Loop BB4_4 Depth 3
	s_mov_b32 s26, 0
	v_mov_b32_e32 v9, 0
	v_mov_b32_e32 v11, v7
	s_mov_b64 s[16:17], s[12:13]
	v_mov_b32_e32 v12, v8
	s_mov_b64 s[18:19], s[14:15]
	s_mov_b32 s20, s24
	v_mov_b32_e32 v10, 0
.LBB4_4:                                ;   Parent Loop BB4_2 Depth=1
                                        ;     Parent Loop BB4_3 Depth=2
                                        ; =>    This Inner Loop Header: Depth=3
	v_add_u32_e32 v14, v4, v12
	v_ashrrev_i32_e32 v15, 31, v14
	v_add_u32_e32 v16, v4, v11
	v_add_u32_e32 v18, 8, v14
	v_lshlrev_b64 v[14:15], 2, v[14:15]
	v_ashrrev_i32_e32 v17, 31, v16
	v_add_co_u32_e32 v14, vcc, s0, v14
	v_add_u32_e32 v20, 8, v16
	v_lshlrev_b64 v[16:17], 2, v[16:17]
	v_addc_co_u32_e32 v15, vcc, v5, v15, vcc
	v_ashrrev_i32_e32 v19, 31, v18
	v_add_co_u32_e32 v16, vcc, s0, v16
	v_addc_co_u32_e32 v17, vcc, v5, v17, vcc
	v_lshlrev_b64 v[18:19], 2, v[18:19]
	v_ashrrev_i32_e32 v21, 31, v20
	global_load_dword v13, v[14:15], off
	global_load_dword v22, v[16:17], off
	v_add_co_u32_e32 v14, vcc, s0, v18
	v_lshlrev_b64 v[20:21], 2, v[20:21]
	v_addc_co_u32_e32 v15, vcc, v5, v19, vcc
	v_add_co_u32_e32 v16, vcc, s0, v20
	v_addc_co_u32_e32 v17, vcc, v5, v21, vcc
	global_load_dword v18, v[14:15], off
	global_load_dword v19, v[16:17], off
	s_add_i32 s4, s1, s26
	s_lshl_b64 s[28:29], s[4:5], 2
	s_add_u32 s28, s10, s28
	s_addc_u32 s29, s11, s29
	s_ashr_i32 s21, s20, 31
	s_load_dword s27, s[16:17], 0x0
	s_load_dword s30, s[18:19], 0x0
	;; [unrolled: 1-line block ×3, first 2 shown]
	s_lshl_b64 s[28:29], s[20:21], 2
	s_add_u32 s28, s10, s28
	s_addc_u32 s29, s11, s29
	s_load_dword s21, s[28:29], 0x0
	s_add_i32 s26, s26, 1
	s_add_i32 s20, s20, s8
	s_add_u32 s18, s18, s6
	s_addc_u32 s19, s19, s7
	s_add_u32 s16, s16, 4
	s_addc_u32 s17, s17, 0
	v_add_u32_e32 v12, s23, v12
	v_add_u32_e32 v11, 16, v11
	s_cmp_eq_u32 s8, s26
	s_waitcnt vmcnt(3) lgkmcnt(0)
	v_fma_f32 v9, -s27, v13, v9
	s_waitcnt vmcnt(2)
	v_fmac_f32_e32 v9, s30, v22
	s_waitcnt vmcnt(1)
	v_fmac_f32_e32 v10, s27, v18
	v_fma_f32 v10, -v22, s21, v10
	v_fmac_f32_e32 v9, s4, v18
	v_fmac_f32_e32 v10, s4, v13
	s_waitcnt vmcnt(0)
	v_fma_f32 v9, -v19, s21, v9
	v_fma_f32 v10, -s30, v19, v10
	s_cbranch_scc0 .LBB4_4
; %bb.5:                                ;   in Loop: Header=BB4_3 Depth=2
	s_add_i32 s4, s25, s9
	v_lshl_add_u32 v11, s4, 4, v3
	v_add_u32_e32 v12, v11, v1
	v_ashrrev_i32_e32 v13, 31, v12
	v_lshlrev_b64 v[12:13], 2, v[12:13]
	v_add_u32_e32 v14, v2, v11
	v_add_co_u32_e32 v12, vcc, s2, v12
	v_ashrrev_i32_e32 v15, 31, v14
	v_addc_co_u32_e32 v13, vcc, v6, v13, vcc
	v_lshlrev_b64 v[14:15], 2, v[14:15]
	v_add_co_u32_e32 v14, vcc, s2, v14
	v_addc_co_u32_e32 v15, vcc, v6, v15, vcc
	global_load_dword v11, v[12:13], off
	global_load_dword v16, v[14:15], off
	s_add_i32 s25, s25, 1
	s_add_i32 s24, s24, 1
	s_add_u32 s14, s14, 4
	s_addc_u32 s15, s15, 0
	s_cmp_eq_u32 s25, s8
	v_add_u32_e32 v8, 16, v8
	s_waitcnt vmcnt(1)
	v_add_f32_e32 v10, v10, v11
	s_waitcnt vmcnt(0)
	v_add_f32_e32 v9, v9, v16
	global_store_dword v[12:13], v10, off
	global_store_dword v[14:15], v9, off
	s_cbranch_scc0 .LBB4_3
; %bb.6:                                ;   in Loop: Header=BB4_2 Depth=1
	s_add_i32 s3, s3, 1
	s_add_i32 s1, s1, s8
	s_add_u32 s12, s12, s6
	s_addc_u32 s13, s13, s7
	s_cmp_eq_u32 s3, s8
	v_add_u32_e32 v7, s23, v7
	s_cbranch_scc0 .LBB4_2
.LBB4_7:
	s_endpgm
	.section	.rodata,"a",@progbits
	.p2align	6, 0x0
	.amdhsa_kernel _Z16comm_aosoa_naivePK15HIP_vector_typeIfLj2EEPS0_S2_i
		.amdhsa_group_segment_fixed_size 0
		.amdhsa_private_segment_fixed_size 0
		.amdhsa_kernarg_size 288
		.amdhsa_user_sgpr_count 6
		.amdhsa_user_sgpr_private_segment_buffer 1
		.amdhsa_user_sgpr_dispatch_ptr 0
		.amdhsa_user_sgpr_queue_ptr 0
		.amdhsa_user_sgpr_kernarg_segment_ptr 1
		.amdhsa_user_sgpr_dispatch_id 0
		.amdhsa_user_sgpr_flat_scratch_init 0
		.amdhsa_user_sgpr_kernarg_preload_length 0
		.amdhsa_user_sgpr_kernarg_preload_offset 0
		.amdhsa_user_sgpr_private_segment_size 0
		.amdhsa_uses_dynamic_stack 0
		.amdhsa_system_sgpr_private_segment_wavefront_offset 0
		.amdhsa_system_sgpr_workgroup_id_x 1
		.amdhsa_system_sgpr_workgroup_id_y 0
		.amdhsa_system_sgpr_workgroup_id_z 0
		.amdhsa_system_sgpr_workgroup_info 0
		.amdhsa_system_vgpr_workitem_id 0
		.amdhsa_next_free_vgpr 23
		.amdhsa_next_free_sgpr 31
		.amdhsa_accum_offset 24
		.amdhsa_reserve_vcc 1
		.amdhsa_reserve_flat_scratch 0
		.amdhsa_float_round_mode_32 0
		.amdhsa_float_round_mode_16_64 0
		.amdhsa_float_denorm_mode_32 3
		.amdhsa_float_denorm_mode_16_64 3
		.amdhsa_dx10_clamp 1
		.amdhsa_ieee_mode 1
		.amdhsa_fp16_overflow 0
		.amdhsa_tg_split 0
		.amdhsa_exception_fp_ieee_invalid_op 0
		.amdhsa_exception_fp_denorm_src 0
		.amdhsa_exception_fp_ieee_div_zero 0
		.amdhsa_exception_fp_ieee_overflow 0
		.amdhsa_exception_fp_ieee_underflow 0
		.amdhsa_exception_fp_ieee_inexact 0
		.amdhsa_exception_int_div_zero 0
	.end_amdhsa_kernel
	.text
.Lfunc_end4:
	.size	_Z16comm_aosoa_naivePK15HIP_vector_typeIfLj2EEPS0_S2_i, .Lfunc_end4-_Z16comm_aosoa_naivePK15HIP_vector_typeIfLj2EEPS0_S2_i
                                        ; -- End function
	.section	.AMDGPU.csdata,"",@progbits
; Kernel info:
; codeLenInByte = 676
; NumSgprs: 35
; NumVgprs: 23
; NumAgprs: 0
; TotalNumVgprs: 23
; ScratchSize: 0
; MemoryBound: 0
; FloatMode: 240
; IeeeMode: 1
; LDSByteSize: 0 bytes/workgroup (compile time only)
; SGPRBlocks: 4
; VGPRBlocks: 2
; NumSGPRsForWavesPerEU: 35
; NumVGPRsForWavesPerEU: 23
; AccumOffset: 24
; Occupancy: 8
; WaveLimiterHint : 0
; COMPUTE_PGM_RSRC2:SCRATCH_EN: 0
; COMPUTE_PGM_RSRC2:USER_SGPR: 6
; COMPUTE_PGM_RSRC2:TRAP_HANDLER: 0
; COMPUTE_PGM_RSRC2:TGID_X_EN: 1
; COMPUTE_PGM_RSRC2:TGID_Y_EN: 0
; COMPUTE_PGM_RSRC2:TGID_Z_EN: 0
; COMPUTE_PGM_RSRC2:TIDIG_COMP_CNT: 0
; COMPUTE_PGM_RSRC3_GFX90A:ACCUM_OFFSET: 5
; COMPUTE_PGM_RSRC3_GFX90A:TG_SPLIT: 0
	.text
	.protected	_Z26comm_aosoa_naive_constantsPK15HIP_vector_typeIfLj2EEPS0_S2_i ; -- Begin function _Z26comm_aosoa_naive_constantsPK15HIP_vector_typeIfLj2EEPS0_S2_i
	.globl	_Z26comm_aosoa_naive_constantsPK15HIP_vector_typeIfLj2EEPS0_S2_i
	.p2align	8
	.type	_Z26comm_aosoa_naive_constantsPK15HIP_vector_typeIfLj2EEPS0_S2_i,@function
_Z26comm_aosoa_naive_constantsPK15HIP_vector_typeIfLj2EEPS0_S2_i: ; @_Z26comm_aosoa_naive_constantsPK15HIP_vector_typeIfLj2EEPS0_S2_i
; %bb.0:
	s_load_dword s7, s[4:5], 0x2c
	s_load_dwordx4 s[0:3], s[4:5], 0x0
	s_load_dwordx2 s[12:13], s[4:5], 0x10
	s_mov_b32 s17, 0
	s_mov_b32 s26, 0
	s_waitcnt lgkmcnt(0)
	s_and_b32 s4, s7, 0xffff
	s_mul_i32 s6, s6, s4
	v_add_u32_e32 v0, s6, v0
	v_ashrrev_i32_e32 v1, 31, v0
	v_lshrrev_b32_e32 v1, 29, v1
	v_add_u32_e32 v1, v0, v1
	v_ashrrev_i32_e32 v2, 3, v1
	s_movk_i32 s4, 0x310
	v_mul_lo_u32 v6, v2, s4
	v_and_b32_e32 v1, -8, v1
	s_movk_i32 s4, 0x308
	v_sub_u32_e32 v7, v0, v1
	v_mad_u64_u32 v[0:1], s[4:5], v2, s4, v[0:1]
	s_add_u32 s14, s12, 0x16c
	v_add_u32_e32 v8, 8, v7
	s_addc_u32 s15, s13, 0
	v_mov_b32_e32 v1, s1
	v_mov_b32_e32 v9, v0
.LBB5_1:                                ; =>This Loop Header: Depth=1
                                        ;     Child Loop BB5_2 Depth 2
	s_mul_i32 s16, s26, 7
	s_lshl_b64 s[4:5], s[16:17], 2
	s_add_u32 s22, s12, s4
	s_mul_i32 s4, s26, 0x70
	v_add_u32_e32 v4, s4, v6
	v_add_u32_e32 v2, v4, v7
	v_ashrrev_i32_e32 v3, 31, v2
	s_addc_u32 s23, s13, s5
	v_lshlrev_b64 v[2:3], 2, v[2:3]
	v_add_u32_e32 v4, v8, v4
	s_lshl_b32 s4, s16, 4
	v_add_co_u32_e32 v2, vcc, s0, v2
	v_ashrrev_i32_e32 v5, 31, v4
	v_add3_u32 v12, s4, 16, v6
	v_addc_co_u32_e32 v3, vcc, v1, v3, vcc
	v_lshlrev_b64 v[4:5], 2, v[4:5]
	v_add_u32_e32 v10, v12, v7
	v_add_co_u32_e32 v4, vcc, s0, v4
	v_ashrrev_i32_e32 v11, 31, v10
	v_addc_co_u32_e32 v5, vcc, v1, v5, vcc
	v_lshlrev_b64 v[10:11], 2, v[10:11]
	v_add_co_u32_e32 v18, vcc, s0, v10
	v_add_u32_e32 v10, v8, v12
	v_addc_co_u32_e32 v19, vcc, v1, v11, vcc
	v_ashrrev_i32_e32 v11, 31, v10
	v_lshlrev_b64 v[10:11], 2, v[10:11]
	v_add3_u32 v12, s4, 32, v6
	v_add_co_u32_e32 v20, vcc, s0, v10
	v_add_u32_e32 v10, v12, v7
	v_addc_co_u32_e32 v21, vcc, v1, v11, vcc
	v_ashrrev_i32_e32 v11, 31, v10
	v_lshlrev_b64 v[10:11], 2, v[10:11]
	v_add_co_u32_e32 v22, vcc, s0, v10
	v_add_u32_e32 v10, v8, v12
	v_addc_co_u32_e32 v23, vcc, v1, v11, vcc
	v_ashrrev_i32_e32 v11, 31, v10
	v_lshlrev_b64 v[10:11], 2, v[10:11]
	v_add3_u32 v12, s4, 48, v6
	v_add_co_u32_e32 v24, vcc, s0, v10
	v_add_u32_e32 v10, v12, v7
	v_addc_co_u32_e32 v25, vcc, v1, v11, vcc
	v_ashrrev_i32_e32 v11, 31, v10
	v_lshlrev_b64 v[10:11], 2, v[10:11]
	v_add_co_u32_e32 v26, vcc, s0, v10
	v_add_u32_e32 v10, v8, v12
	v_addc_co_u32_e32 v27, vcc, v1, v11, vcc
	v_ashrrev_i32_e32 v11, 31, v10
	v_lshlrev_b64 v[10:11], 2, v[10:11]
	v_add_co_u32_e32 v28, vcc, s0, v10
	v_addc_co_u32_e32 v29, vcc, v1, v11, vcc
	global_load_dword v10, v[2:3], off
	global_load_dword v11, v[4:5], off
	;; [unrolled: 1-line block ×8, first 2 shown]
	v_add3_u32 v4, s4, 64, v6
	v_add_u32_e32 v2, v4, v7
	v_ashrrev_i32_e32 v3, 31, v2
	v_lshlrev_b64 v[2:3], 2, v[2:3]
	v_add_u32_e32 v4, v8, v4
	s_add_i32 s5, s4, 0x50
	v_add_co_u32_e32 v2, vcc, s0, v2
	v_ashrrev_i32_e32 v5, 31, v4
	v_add_u32_e32 v20, s5, v6
	v_addc_co_u32_e32 v3, vcc, v1, v3, vcc
	v_lshlrev_b64 v[4:5], 2, v[4:5]
	v_add_u32_e32 v18, v20, v7
	v_add_co_u32_e32 v4, vcc, s0, v4
	v_ashrrev_i32_e32 v19, 31, v18
	v_addc_co_u32_e32 v5, vcc, v1, v5, vcc
	v_lshlrev_b64 v[18:19], 2, v[18:19]
	v_add_co_u32_e32 v24, vcc, s0, v18
	v_add_u32_e32 v18, v8, v20
	v_addc_co_u32_e32 v25, vcc, v1, v19, vcc
	v_ashrrev_i32_e32 v19, 31, v18
	s_addk_i32 s4, 0x60
	v_lshlrev_b64 v[18:19], 2, v[18:19]
	v_add_u32_e32 v20, s4, v6
	v_add_co_u32_e32 v26, vcc, s0, v18
	v_add_u32_e32 v18, v20, v7
	v_addc_co_u32_e32 v27, vcc, v1, v19, vcc
	v_ashrrev_i32_e32 v19, 31, v18
	v_lshlrev_b64 v[18:19], 2, v[18:19]
	v_add_co_u32_e32 v28, vcc, s0, v18
	v_add_u32_e32 v18, v8, v20
	v_addc_co_u32_e32 v29, vcc, v1, v19, vcc
	v_ashrrev_i32_e32 v19, 31, v18
	v_lshlrev_b64 v[18:19], 2, v[18:19]
	v_add_co_u32_e32 v30, vcc, s0, v18
	v_addc_co_u32_e32 v31, vcc, v1, v19, vcc
	global_load_dword v18, v[2:3], off
	global_load_dword v19, v[4:5], off
	;; [unrolled: 1-line block ×6, first 2 shown]
	s_load_dwordx4 s[4:7], s[22:23], 0x0
	s_load_dwordx2 s[18:19], s[22:23], 0x10
	s_load_dword s16, s[22:23], 0x18
	s_load_dwordx4 s[8:11], s[22:23], 0xc4
	s_load_dwordx2 s[20:21], s[22:23], 0xd4
	s_load_dword s27, s[22:23], 0xdc
	s_mov_b64 s[22:23], s[14:15]
	s_mov_b32 s28, 0
.LBB5_2:                                ;   Parent Loop BB5_1 Depth=1
                                        ; =>  This Inner Loop Header: Depth=2
	v_add_u32_e32 v2, s28, v0
	v_ashrrev_i32_e32 v3, 31, v2
	v_add_u32_e32 v24, s28, v9
	v_add_u32_e32 v26, 8, v2
	v_add_u32_e32 v28, 0x70, v2
	v_add_u32_e32 v30, 0x78, v2
	v_add_u32_e32 v32, 0xe0, v2
	v_add_u32_e32 v34, 0xe8, v2
	v_add_u32_e32 v36, 0x150, v2
	v_add_u32_e32 v38, 0x158, v2
	v_add_u32_e32 v40, 0x1c0, v2
	v_add_u32_e32 v42, 0x1c8, v2
	v_add_u32_e32 v44, 0x230, v2
	v_add_u32_e32 v46, 0x238, v2
	v_add_u32_e32 v48, 0x2a0, v2
	v_add_u32_e32 v50, 0x2a8, v2
	v_lshlrev_b64 v[2:3], 2, v[2:3]
	v_mov_b32_e32 v4, s1
	v_ashrrev_i32_e32 v25, 31, v24
	v_add_co_u32_e32 v54, vcc, s0, v2
	v_add_u32_e32 v52, 8, v24
	v_lshlrev_b64 v[24:25], 2, v[24:25]
	v_addc_co_u32_e32 v55, vcc, v4, v3, vcc
	v_mov_b32_e32 v5, s3
	v_ashrrev_i32_e32 v27, 31, v26
	v_add_co_u32_e32 v2, vcc, s2, v24
	v_lshlrev_b64 v[26:27], 2, v[26:27]
	v_addc_co_u32_e32 v3, vcc, v5, v25, vcc
	v_ashrrev_i32_e32 v29, 31, v28
	v_add_co_u32_e32 v26, vcc, s0, v26
	v_lshlrev_b64 v[28:29], 2, v[28:29]
	v_addc_co_u32_e32 v27, vcc, v4, v27, vcc
	;; [unrolled: 4-line block ×9, first 2 shown]
	v_ashrrev_i32_e32 v45, 31, v44
	v_add_co_u32_e32 v42, vcc, s0, v42
	v_ashrrev_i32_e32 v53, 31, v52
	v_lshlrev_b64 v[44:45], 2, v[44:45]
	v_addc_co_u32_e32 v43, vcc, v4, v43, vcc
	v_ashrrev_i32_e32 v47, 31, v46
	v_lshlrev_b64 v[24:25], 2, v[52:53]
	global_load_dword v52, v[54:55], off
	v_add_co_u32_e32 v44, vcc, s0, v44
	v_lshlrev_b64 v[46:47], 2, v[46:47]
	v_addc_co_u32_e32 v45, vcc, v4, v45, vcc
	v_ashrrev_i32_e32 v49, 31, v48
	v_add_co_u32_e32 v46, vcc, s0, v46
	v_lshlrev_b64 v[48:49], 2, v[48:49]
	v_addc_co_u32_e32 v47, vcc, v4, v47, vcc
	v_ashrrev_i32_e32 v51, 31, v50
	v_add_co_u32_e32 v48, vcc, s0, v48
	s_add_u32 s24, s22, 0xfffffe94
	v_lshlrev_b64 v[50:51], 2, v[50:51]
	v_addc_co_u32_e32 v49, vcc, v4, v49, vcc
	s_addc_u32 s25, s23, -1
	v_add_co_u32_e32 v50, vcc, s0, v50
	s_load_dword s29, s[22:23], 0x0
	s_load_dword s30, s[24:25], 0x0
	s_add_u32 s24, s22, 0xffffff58
	v_addc_co_u32_e32 v51, vcc, v4, v51, vcc
	s_addc_u32 s25, s23, -1
	v_add_co_u32_e32 v4, vcc, s2, v24
	s_load_dword s31, s[24:25], 0x0
	v_addc_co_u32_e32 v5, vcc, v5, v25, vcc
	global_load_dword v24, v[2:3], off
	global_load_dword v25, v[26:27], off
	;; [unrolled: 1-line block ×15, first 2 shown]
	s_add_u32 s24, s22, 0xfffffeb0
	s_addc_u32 s25, s23, -1
	s_load_dword s33, s[24:25], 0x0
	s_add_u32 s24, s22, 0xffffff74
	s_addc_u32 s25, s23, -1
	s_load_dword s34, s[24:25], 0x0
	;; [unrolled: 3-line block ×11, first 2 shown]
	s_add_i32 s28, s28, 16
	s_add_u32 s22, s22, 4
	s_addc_u32 s23, s23, 0
	s_cmpk_lg_i32 s28, 0x70
	s_waitcnt vmcnt(15) lgkmcnt(0)
	v_fma_f32 v31, -s4, v52, 0
	v_fmac_f32_e32 v31, s30, v10
	s_waitcnt vmcnt(13)
	v_fma_f32 v32, s4, v25, 0
	v_fmac_f32_e32 v31, s8, v25
	v_fma_f32 v25, -v10, s31, v32
	v_fma_f32 v31, -v11, s31, v31
	v_fmac_f32_e32 v25, s8, v52
	v_fma_f32 v25, -s30, v11, v25
	s_waitcnt vmcnt(12)
	v_fma_f32 v31, -s5, v53, v31
	v_fmac_f32_e32 v31, s33, v12
	s_waitcnt vmcnt(11)
	v_fmac_f32_e32 v25, s5, v54
	v_fmac_f32_e32 v31, s9, v54
	v_fma_f32 v25, -v12, s34, v25
	v_fma_f32 v31, -v13, s34, v31
	v_fmac_f32_e32 v25, s9, v53
	v_fma_f32 v25, -s33, v13, v25
	s_waitcnt vmcnt(10)
	v_fma_f32 v31, -s6, v55, v31
	v_fmac_f32_e32 v31, s35, v14
	s_waitcnt vmcnt(9)
	v_fmac_f32_e32 v25, s6, v56
	v_fmac_f32_e32 v31, s10, v56
	v_fma_f32 v25, -v14, s36, v25
	v_fma_f32 v31, -v15, s36, v31
	v_fmac_f32_e32 v25, s10, v55
	v_fma_f32 v25, -s35, v15, v25
	s_waitcnt vmcnt(8)
	v_fma_f32 v31, -s7, v57, v31
	v_fmac_f32_e32 v31, s37, v16
	s_waitcnt vmcnt(7)
	v_fmac_f32_e32 v25, s7, v58
	v_fmac_f32_e32 v31, s11, v58
	v_fma_f32 v25, -v16, s38, v25
	v_fma_f32 v31, -v17, s38, v31
	v_fmac_f32_e32 v25, s11, v57
	v_fma_f32 v25, -s37, v17, v25
	s_waitcnt vmcnt(6)
	v_fma_f32 v31, -s18, v59, v31
	v_fmac_f32_e32 v31, s39, v18
	s_waitcnt vmcnt(5)
	v_fmac_f32_e32 v25, s18, v60
	v_fmac_f32_e32 v31, s20, v60
	v_fma_f32 v25, -v18, s40, v25
	v_fma_f32 v31, -v19, s40, v31
	v_fmac_f32_e32 v25, s20, v59
	v_fma_f32 v25, -s39, v19, v25
	s_waitcnt vmcnt(4)
	v_fma_f32 v31, -s19, v26, v31
	v_fmac_f32_e32 v31, s41, v20
	s_waitcnt vmcnt(3)
	v_fmac_f32_e32 v25, s19, v27
	v_fmac_f32_e32 v31, s21, v27
	v_fma_f32 v25, -v20, s42, v25
	v_fma_f32 v27, -v21, s42, v31
	v_fmac_f32_e32 v25, s21, v26
	v_fma_f32 v25, -s41, v21, v25
	s_waitcnt vmcnt(2)
	v_fma_f32 v26, -s16, v28, v27
	v_fmac_f32_e32 v26, s24, v22
	s_waitcnt vmcnt(1)
	v_fmac_f32_e32 v25, s16, v29
	v_fmac_f32_e32 v26, s27, v29
	v_fma_f32 v25, -v22, s29, v25
	v_fma_f32 v26, -v23, s29, v26
	v_fmac_f32_e32 v25, s27, v28
	v_fma_f32 v25, -s24, v23, v25
	s_waitcnt vmcnt(0)
	v_add_f32_e32 v26, v26, v30
	v_add_f32_e32 v24, v25, v24
	global_store_dword v[4:5], v26, off
	global_store_dword v[2:3], v24, off
	s_cbranch_scc1 .LBB5_2
; %bb.3:                                ;   in Loop: Header=BB5_1 Depth=1
	s_add_i32 s26, s26, 1
	s_cmp_eq_u32 s26, 7
	v_add_u32_e32 v9, 0x70, v9
	s_cbranch_scc0 .LBB5_1
; %bb.4:
	s_endpgm
	.section	.rodata,"a",@progbits
	.p2align	6, 0x0
	.amdhsa_kernel _Z26comm_aosoa_naive_constantsPK15HIP_vector_typeIfLj2EEPS0_S2_i
		.amdhsa_group_segment_fixed_size 0
		.amdhsa_private_segment_fixed_size 0
		.amdhsa_kernarg_size 288
		.amdhsa_user_sgpr_count 6
		.amdhsa_user_sgpr_private_segment_buffer 1
		.amdhsa_user_sgpr_dispatch_ptr 0
		.amdhsa_user_sgpr_queue_ptr 0
		.amdhsa_user_sgpr_kernarg_segment_ptr 1
		.amdhsa_user_sgpr_dispatch_id 0
		.amdhsa_user_sgpr_flat_scratch_init 0
		.amdhsa_user_sgpr_kernarg_preload_length 0
		.amdhsa_user_sgpr_kernarg_preload_offset 0
		.amdhsa_user_sgpr_private_segment_size 0
		.amdhsa_uses_dynamic_stack 0
		.amdhsa_system_sgpr_private_segment_wavefront_offset 0
		.amdhsa_system_sgpr_workgroup_id_x 1
		.amdhsa_system_sgpr_workgroup_id_y 0
		.amdhsa_system_sgpr_workgroup_id_z 0
		.amdhsa_system_sgpr_workgroup_info 0
		.amdhsa_system_vgpr_workitem_id 0
		.amdhsa_next_free_vgpr 61
		.amdhsa_next_free_sgpr 43
		.amdhsa_accum_offset 64
		.amdhsa_reserve_vcc 1
		.amdhsa_reserve_flat_scratch 0
		.amdhsa_float_round_mode_32 0
		.amdhsa_float_round_mode_16_64 0
		.amdhsa_float_denorm_mode_32 3
		.amdhsa_float_denorm_mode_16_64 3
		.amdhsa_dx10_clamp 1
		.amdhsa_ieee_mode 1
		.amdhsa_fp16_overflow 0
		.amdhsa_tg_split 0
		.amdhsa_exception_fp_ieee_invalid_op 0
		.amdhsa_exception_fp_denorm_src 0
		.amdhsa_exception_fp_ieee_div_zero 0
		.amdhsa_exception_fp_ieee_overflow 0
		.amdhsa_exception_fp_ieee_underflow 0
		.amdhsa_exception_fp_ieee_inexact 0
		.amdhsa_exception_int_div_zero 0
	.end_amdhsa_kernel
	.text
.Lfunc_end5:
	.size	_Z26comm_aosoa_naive_constantsPK15HIP_vector_typeIfLj2EEPS0_S2_i, .Lfunc_end5-_Z26comm_aosoa_naive_constantsPK15HIP_vector_typeIfLj2EEPS0_S2_i
                                        ; -- End function
	.section	.AMDGPU.csdata,"",@progbits
; Kernel info:
; codeLenInByte = 2016
; NumSgprs: 47
; NumVgprs: 61
; NumAgprs: 0
; TotalNumVgprs: 61
; ScratchSize: 0
; MemoryBound: 0
; FloatMode: 240
; IeeeMode: 1
; LDSByteSize: 0 bytes/workgroup (compile time only)
; SGPRBlocks: 5
; VGPRBlocks: 7
; NumSGPRsForWavesPerEU: 47
; NumVGPRsForWavesPerEU: 61
; AccumOffset: 64
; Occupancy: 8
; WaveLimiterHint : 0
; COMPUTE_PGM_RSRC2:SCRATCH_EN: 0
; COMPUTE_PGM_RSRC2:USER_SGPR: 6
; COMPUTE_PGM_RSRC2:TRAP_HANDLER: 0
; COMPUTE_PGM_RSRC2:TGID_X_EN: 1
; COMPUTE_PGM_RSRC2:TGID_Y_EN: 0
; COMPUTE_PGM_RSRC2:TGID_Z_EN: 0
; COMPUTE_PGM_RSRC2:TIDIG_COMP_CNT: 0
; COMPUTE_PGM_RSRC3_GFX90A:ACCUM_OFFSET: 15
; COMPUTE_PGM_RSRC3_GFX90A:TG_SPLIT: 0
	.text
	.protected	_Z31comm_aosoa_naive_constants_permPK15HIP_vector_typeIfLj2EEPS0_S2_ ; -- Begin function _Z31comm_aosoa_naive_constants_permPK15HIP_vector_typeIfLj2EEPS0_S2_
	.globl	_Z31comm_aosoa_naive_constants_permPK15HIP_vector_typeIfLj2EEPS0_S2_
	.p2align	8
	.type	_Z31comm_aosoa_naive_constants_permPK15HIP_vector_typeIfLj2EEPS0_S2_,@function
_Z31comm_aosoa_naive_constants_permPK15HIP_vector_typeIfLj2EEPS0_S2_: ; @_Z31comm_aosoa_naive_constants_permPK15HIP_vector_typeIfLj2EEPS0_S2_
; %bb.0:
	s_load_dword s0, s[4:5], 0x24
	s_load_dwordx4 s[8:11], s[4:5], 0x0
	s_load_dwordx2 s[2:3], s[4:5], 0x10
	s_mov_b32 s24, 0
	s_mov_b64 s[16:17], 0xc4
	s_waitcnt lgkmcnt(0)
	s_and_b32 s0, s0, 0xffff
	s_mul_i32 s6, s6, s0
	v_add_u32_e32 v36, s6, v0
	v_ashrrev_i32_e32 v0, 31, v36
	v_lshrrev_b32_e32 v0, 29, v0
	v_add_u32_e32 v0, v36, v0
	v_ashrrev_i32_e32 v1, 3, v0
	s_movk_i32 s0, 0x310
	v_and_b32_e32 v0, -8, v0
	v_mul_lo_u32 v37, v1, s0
	v_sub_u32_e32 v38, v36, v0
	s_movk_i32 s0, 0x308
	v_add_u32_e32 v39, 8, v38
	v_mul_lo_u32 v40, v1, s0
	v_mov_b32_e32 v41, s11
	v_mov_b32_e32 v42, v36
.LBB6_1:                                ; =>This Loop Header: Depth=1
                                        ;     Child Loop BB6_2 Depth 2
	s_mul_i32 s0, s24, 0x70
	v_add_u32_e32 v24, s0, v37
	v_add_u32_e32 v0, v24, v38
	v_ashrrev_i32_e32 v1, 31, v0
	v_lshlrev_b64 v[0:1], 2, v[0:1]
	v_add_u32_e32 v2, v39, v24
	v_add_co_u32_e32 v0, vcc, s10, v0
	v_ashrrev_i32_e32 v3, 31, v2
	v_add_u32_e32 v6, 16, v24
	v_addc_co_u32_e32 v1, vcc, v41, v1, vcc
	v_lshlrev_b64 v[2:3], 2, v[2:3]
	v_add_u32_e32 v4, v6, v38
	v_add_co_u32_e32 v2, vcc, s10, v2
	v_ashrrev_i32_e32 v5, 31, v4
	v_addc_co_u32_e32 v3, vcc, v41, v3, vcc
	v_lshlrev_b64 v[4:5], 2, v[4:5]
	v_add_u32_e32 v6, v39, v6
	v_add_co_u32_e32 v4, vcc, s10, v4
	v_ashrrev_i32_e32 v7, 31, v6
	v_add_u32_e32 v10, 32, v24
	v_addc_co_u32_e32 v5, vcc, v41, v5, vcc
	v_lshlrev_b64 v[6:7], 2, v[6:7]
	v_add_u32_e32 v8, v10, v38
	v_add_co_u32_e32 v6, vcc, s10, v6
	v_ashrrev_i32_e32 v9, 31, v8
	v_addc_co_u32_e32 v7, vcc, v41, v7, vcc
	;; [unrolled: 11-line block ×6, first 2 shown]
	v_lshlrev_b64 v[24:25], 2, v[24:25]
	v_add_u32_e32 v26, v39, v26
	v_add_co_u32_e32 v24, vcc, s10, v24
	v_ashrrev_i32_e32 v27, 31, v26
	v_addc_co_u32_e32 v25, vcc, v41, v25, vcc
	v_lshlrev_b64 v[26:27], 2, v[26:27]
	v_add_co_u32_e32 v26, vcc, s10, v26
	v_addc_co_u32_e32 v27, vcc, v41, v27, vcc
	s_mov_b64 s[18:19], 0
	v_mov_b32_e32 v43, v42
	v_mov_b32_e32 v44, v36
	s_mov_b64 s[20:21], s[16:17]
.LBB6_2:                                ;   Parent Loop BB6_1 Depth=1
                                        ; =>  This Inner Loop Header: Depth=2
	v_add_u32_e32 v30, v40, v43
	v_add_u32_e32 v28, v40, v44
	v_ashrrev_i32_e32 v31, 31, v30
	v_ashrrev_i32_e32 v29, 31, v28
	v_add_u32_e32 v32, 8, v30
	v_add_u32_e32 v34, 8, v28
	v_lshlrev_b64 v[30:31], 2, v[30:31]
	v_lshlrev_b64 v[46:47], 2, v[28:29]
	v_mov_b32_e32 v45, s9
	v_ashrrev_i32_e32 v33, 31, v32
	v_ashrrev_i32_e32 v35, 31, v34
	v_add_co_u32_e32 v30, vcc, s8, v30
	v_add_co_u32_e64 v46, s[0:1], s8, v46
	global_load_dword v48, v[0:1], off
	global_load_dword v49, v[2:3], off
	v_lshlrev_b64 v[32:33], 2, v[32:33]
	v_lshlrev_b64 v[34:35], 2, v[34:35]
	v_addc_co_u32_e32 v31, vcc, v45, v31, vcc
	v_addc_co_u32_e64 v47, vcc, v45, v47, s[0:1]
	v_add_co_u32_e32 v32, vcc, s8, v32
	v_add_co_u32_e64 v34, s[0:1], s8, v34
	global_load_dword v29, v[30:31], off
	v_addc_co_u32_e32 v33, vcc, v45, v33, vcc
	v_addc_co_u32_e64 v35, vcc, v45, v35, s[0:1]
	global_load_dword v31, v[46:47], off
	global_load_dword v50, v[34:35], off
	;; [unrolled: 1-line block ×3, first 2 shown]
	s_add_u32 s0, s2, s20
	s_addc_u32 s1, s3, s21
	v_add_u32_e32 v32, 16, v28
	s_add_u32 s4, s0, 0xffffff3c
	v_ashrrev_i32_e32 v33, 31, v32
	s_addc_u32 s5, s1, -1
	v_lshlrev_b64 v[32:33], 2, v[32:33]
	s_load_dword s11, s[0:1], 0x0
	s_load_dword s25, s[4:5], 0x0
	s_add_u32 s22, s2, s18
	v_add_co_u32_e32 v32, vcc, s8, v32
	v_addc_co_u32_e32 v33, vcc, v45, v33, vcc
	s_addc_u32 s23, s3, s19
	global_load_dword v46, v[32:33], off
	s_load_dwordx4 s[4:7], s[22:23], 0x0
	s_load_dwordx4 s[12:15], s[22:23], 0xc4
	v_add_u32_e32 v34, 24, v28
	v_ashrrev_i32_e32 v35, 31, v34
	v_lshlrev_b64 v[34:35], 2, v[34:35]
	v_add_co_u32_e64 v34, s[0:1], s8, v34
	v_addc_co_u32_e64 v35, vcc, v45, v35, s[0:1]
	global_load_dword v47, v[34:35], off
	v_add_u32_e32 v34, 40, v28
	v_ashrrev_i32_e32 v35, 31, v34
	v_lshlrev_b64 v[34:35], 2, v[34:35]
	v_add_co_u32_e64 v34, s[0:1], s8, v34
	s_add_u32 s20, s20, 4
	s_addc_u32 s21, s21, 0
	s_add_u32 s18, s18, 28
	s_addc_u32 s19, s19, 0
	v_add_u32_e32 v44, 0x70, v44
	v_add_u32_e32 v43, 16, v43
	s_cmpk_eq_i32 s18, 0xc4
	s_waitcnt vmcnt(4) lgkmcnt(0)
	v_fma_f32 v32, -s25, v31, v49
	s_waitcnt vmcnt(3)
	v_fmac_f32_e32 v48, s25, v50
	v_fmac_f32_e32 v32, s4, v29
	v_fma_f32 v33, -v29, s12, v48
	v_fmac_f32_e32 v32, s11, v50
	v_fmac_f32_e32 v33, s11, v31
	s_waitcnt vmcnt(2)
	v_fma_f32 v31, -v30, s12, v32
	v_fma_f32 v32, -v30, s4, v33
	global_store_dword v[2:3], v31, off
	global_store_dword v[0:1], v32, off
	global_load_dword v31, v[4:5], off
	s_nop 0
	global_load_dword v48, v[6:7], off
	v_add_u32_e32 v32, 32, v28
	v_ashrrev_i32_e32 v33, 31, v32
	v_lshlrev_b64 v[32:33], 2, v[32:33]
	v_add_co_u32_e32 v32, vcc, s8, v32
	v_addc_co_u32_e32 v33, vcc, v45, v33, vcc
	v_addc_co_u32_e64 v35, vcc, v45, v35, s[0:1]
	global_load_dword v49, v[32:33], off
	global_load_dword v50, v[34:35], off
	v_add_u32_e32 v34, 56, v28
	v_ashrrev_i32_e32 v35, 31, v34
	v_lshlrev_b64 v[34:35], 2, v[34:35]
	v_add_co_u32_e64 v34, s[0:1], s8, v34
	s_waitcnt vmcnt(3)
	v_fmac_f32_e32 v31, s25, v47
	s_waitcnt vmcnt(2)
	v_fma_f32 v32, -s25, v46, v48
	v_fma_f32 v31, -v29, s13, v31
	v_fmac_f32_e32 v32, s5, v29
	v_fmac_f32_e32 v31, s11, v46
	;; [unrolled: 1-line block ×3, first 2 shown]
	v_fma_f32 v31, -v30, s5, v31
	v_fma_f32 v32, -v30, s13, v32
	global_store_dword v[4:5], v31, off
	global_store_dword v[6:7], v32, off
	global_load_dword v31, v[10:11], off
	s_nop 0
	global_load_dword v46, v[8:9], off
	v_add_u32_e32 v32, 48, v28
	v_ashrrev_i32_e32 v33, 31, v32
	v_lshlrev_b64 v[32:33], 2, v[32:33]
	v_add_co_u32_e32 v32, vcc, s8, v32
	v_addc_co_u32_e32 v33, vcc, v45, v33, vcc
	v_addc_co_u32_e64 v35, vcc, v45, v35, s[0:1]
	global_load_dword v47, v[32:33], off
	global_load_dword v48, v[34:35], off
	v_add_u32_e32 v34, 0x48, v28
	v_ashrrev_i32_e32 v35, 31, v34
	v_lshlrev_b64 v[34:35], 2, v[34:35]
	v_add_co_u32_e64 v34, s[0:1], s8, v34
	s_waitcnt vmcnt(3)
	v_fma_f32 v31, -s25, v49, v31
	s_waitcnt vmcnt(2)
	v_fmac_f32_e32 v46, s25, v50
	v_fmac_f32_e32 v31, s6, v29
	v_fma_f32 v32, -v29, s14, v46
	v_fmac_f32_e32 v31, s11, v50
	v_fmac_f32_e32 v32, s11, v49
	v_fma_f32 v31, -v30, s14, v31
	v_fma_f32 v32, -v30, s6, v32
	global_store_dword v[10:11], v31, off
	global_store_dword v[8:9], v32, off
	global_load_dword v31, v[12:13], off
	s_nop 0
	global_load_dword v46, v[14:15], off
	v_add_u32_e32 v32, 64, v28
	v_ashrrev_i32_e32 v33, 31, v32
	v_lshlrev_b64 v[32:33], 2, v[32:33]
	v_add_co_u32_e32 v32, vcc, s8, v32
	v_addc_co_u32_e32 v33, vcc, v45, v33, vcc
	v_addc_co_u32_e64 v35, vcc, v45, v35, s[0:1]
	global_load_dword v49, v[32:33], off
	global_load_dword v50, v[34:35], off
	v_add_u32_e32 v34, 0x58, v28
	v_ashrrev_i32_e32 v35, 31, v34
	v_lshlrev_b64 v[34:35], 2, v[34:35]
	v_add_co_u32_e64 v34, s[0:1], s8, v34
	s_waitcnt vmcnt(3)
	v_fmac_f32_e32 v31, s25, v48
	s_waitcnt vmcnt(2)
	v_fma_f32 v32, -s25, v47, v46
	v_fma_f32 v31, -v29, s15, v31
	v_fmac_f32_e32 v32, s7, v29
	v_fmac_f32_e32 v31, s11, v47
	;; [unrolled: 1-line block ×3, first 2 shown]
	v_fma_f32 v31, -v30, s7, v31
	v_fma_f32 v32, -v30, s15, v32
	global_store_dword v[12:13], v31, off
	global_store_dword v[14:15], v32, off
	global_load_dword v31, v[18:19], off
	s_nop 0
	global_load_dword v46, v[16:17], off
	s_load_dwordx2 s[4:5], s[22:23], 0x10
	s_load_dwordx2 s[6:7], s[22:23], 0xd4
	v_add_u32_e32 v32, 0x50, v28
	v_ashrrev_i32_e32 v33, 31, v32
	v_lshlrev_b64 v[32:33], 2, v[32:33]
	v_add_co_u32_e32 v32, vcc, s8, v32
	v_addc_co_u32_e32 v33, vcc, v45, v33, vcc
	v_addc_co_u32_e64 v35, vcc, v45, v35, s[0:1]
	global_load_dword v47, v[32:33], off
	global_load_dword v48, v[34:35], off
	v_add_u32_e32 v34, 0x68, v28
	v_ashrrev_i32_e32 v35, 31, v34
	v_lshlrev_b64 v[34:35], 2, v[34:35]
	v_add_co_u32_e64 v34, s[0:1], s8, v34
	s_waitcnt vmcnt(3)
	v_fma_f32 v31, -s25, v49, v31
	s_waitcnt vmcnt(2)
	v_fmac_f32_e32 v46, s25, v50
	s_waitcnt lgkmcnt(0)
	v_fmac_f32_e32 v31, s4, v29
	v_fma_f32 v32, -v29, s6, v46
	v_fmac_f32_e32 v31, s11, v50
	v_fmac_f32_e32 v32, s11, v49
	v_fma_f32 v31, -v30, s6, v31
	v_fma_f32 v32, -v30, s4, v32
	global_store_dword v[18:19], v31, off
	global_store_dword v[16:17], v32, off
	global_load_dword v31, v[20:21], off
	s_nop 0
	global_load_dword v46, v[22:23], off
	v_add_u32_e32 v32, 0x60, v28
	v_ashrrev_i32_e32 v33, 31, v32
	v_lshlrev_b64 v[32:33], 2, v[32:33]
	v_add_co_u32_e32 v32, vcc, s8, v32
	v_addc_co_u32_e32 v33, vcc, v45, v33, vcc
	v_addc_co_u32_e64 v35, vcc, v45, v35, s[0:1]
	global_load_dword v28, v[32:33], off
	global_load_dword v45, v[34:35], off
	s_waitcnt vmcnt(3)
	v_fmac_f32_e32 v31, s25, v48
	s_waitcnt vmcnt(2)
	v_fma_f32 v32, -s25, v47, v46
	v_fma_f32 v31, -v29, s7, v31
	v_fmac_f32_e32 v32, s5, v29
	v_fmac_f32_e32 v31, s11, v47
	;; [unrolled: 1-line block ×3, first 2 shown]
	v_fma_f32 v31, -v30, s5, v31
	v_fma_f32 v32, -v30, s7, v32
	global_store_dword v[20:21], v31, off
	global_store_dword v[22:23], v32, off
	global_load_dword v31, v[26:27], off
	s_nop 0
	global_load_dword v32, v[24:25], off
	s_load_dword s0, s[22:23], 0x18
	s_load_dword s1, s[22:23], 0xdc
	s_waitcnt vmcnt(1)
	v_fma_f32 v31, -s25, v28, v31
	s_waitcnt vmcnt(0)
	v_fmac_f32_e32 v32, s25, v45
	s_waitcnt lgkmcnt(0)
	v_fmac_f32_e32 v31, s0, v29
	v_fma_f32 v29, -v29, s1, v32
	v_fmac_f32_e32 v31, s11, v45
	v_fmac_f32_e32 v29, s11, v28
	v_fma_f32 v28, -v30, s1, v31
	v_fma_f32 v29, -v30, s0, v29
	global_store_dword v[26:27], v28, off
	global_store_dword v[24:25], v29, off
	s_cbranch_scc0 .LBB6_2
; %bb.3:                                ;   in Loop: Header=BB6_1 Depth=1
	s_add_i32 s24, s24, 1
	s_add_u32 s16, s16, 28
	s_addc_u32 s17, s17, 0
	s_cmp_eq_u32 s24, 7
	v_add_u32_e32 v42, 0x70, v42
	s_cbranch_scc0 .LBB6_1
; %bb.4:
	s_endpgm
	.section	.rodata,"a",@progbits
	.p2align	6, 0x0
	.amdhsa_kernel _Z31comm_aosoa_naive_constants_permPK15HIP_vector_typeIfLj2EEPS0_S2_
		.amdhsa_group_segment_fixed_size 0
		.amdhsa_private_segment_fixed_size 0
		.amdhsa_kernarg_size 280
		.amdhsa_user_sgpr_count 6
		.amdhsa_user_sgpr_private_segment_buffer 1
		.amdhsa_user_sgpr_dispatch_ptr 0
		.amdhsa_user_sgpr_queue_ptr 0
		.amdhsa_user_sgpr_kernarg_segment_ptr 1
		.amdhsa_user_sgpr_dispatch_id 0
		.amdhsa_user_sgpr_flat_scratch_init 0
		.amdhsa_user_sgpr_kernarg_preload_length 0
		.amdhsa_user_sgpr_kernarg_preload_offset 0
		.amdhsa_user_sgpr_private_segment_size 0
		.amdhsa_uses_dynamic_stack 0
		.amdhsa_system_sgpr_private_segment_wavefront_offset 0
		.amdhsa_system_sgpr_workgroup_id_x 1
		.amdhsa_system_sgpr_workgroup_id_y 0
		.amdhsa_system_sgpr_workgroup_id_z 0
		.amdhsa_system_sgpr_workgroup_info 0
		.amdhsa_system_vgpr_workitem_id 0
		.amdhsa_next_free_vgpr 51
		.amdhsa_next_free_sgpr 26
		.amdhsa_accum_offset 52
		.amdhsa_reserve_vcc 1
		.amdhsa_reserve_flat_scratch 0
		.amdhsa_float_round_mode_32 0
		.amdhsa_float_round_mode_16_64 0
		.amdhsa_float_denorm_mode_32 3
		.amdhsa_float_denorm_mode_16_64 3
		.amdhsa_dx10_clamp 1
		.amdhsa_ieee_mode 1
		.amdhsa_fp16_overflow 0
		.amdhsa_tg_split 0
		.amdhsa_exception_fp_ieee_invalid_op 0
		.amdhsa_exception_fp_denorm_src 0
		.amdhsa_exception_fp_ieee_div_zero 0
		.amdhsa_exception_fp_ieee_overflow 0
		.amdhsa_exception_fp_ieee_underflow 0
		.amdhsa_exception_fp_ieee_inexact 0
		.amdhsa_exception_int_div_zero 0
	.end_amdhsa_kernel
	.text
.Lfunc_end6:
	.size	_Z31comm_aosoa_naive_constants_permPK15HIP_vector_typeIfLj2EEPS0_S2_, .Lfunc_end6-_Z31comm_aosoa_naive_constants_permPK15HIP_vector_typeIfLj2EEPS0_S2_
                                        ; -- End function
	.section	.AMDGPU.csdata,"",@progbits
; Kernel info:
; codeLenInByte = 1924
; NumSgprs: 30
; NumVgprs: 51
; NumAgprs: 0
; TotalNumVgprs: 51
; ScratchSize: 0
; MemoryBound: 0
; FloatMode: 240
; IeeeMode: 1
; LDSByteSize: 0 bytes/workgroup (compile time only)
; SGPRBlocks: 3
; VGPRBlocks: 6
; NumSGPRsForWavesPerEU: 30
; NumVGPRsForWavesPerEU: 51
; AccumOffset: 52
; Occupancy: 8
; WaveLimiterHint : 1
; COMPUTE_PGM_RSRC2:SCRATCH_EN: 0
; COMPUTE_PGM_RSRC2:USER_SGPR: 6
; COMPUTE_PGM_RSRC2:TRAP_HANDLER: 0
; COMPUTE_PGM_RSRC2:TGID_X_EN: 1
; COMPUTE_PGM_RSRC2:TGID_Y_EN: 0
; COMPUTE_PGM_RSRC2:TGID_Z_EN: 0
; COMPUTE_PGM_RSRC2:TIDIG_COMP_CNT: 0
; COMPUTE_PGM_RSRC3_GFX90A:ACCUM_OFFSET: 12
; COMPUTE_PGM_RSRC3_GFX90A:TG_SPLIT: 0
	.text
	.protected	_Z23comm_aosoa_naive_directPK15HIP_vector_typeIfLj2EEPS0_S2_i ; -- Begin function _Z23comm_aosoa_naive_directPK15HIP_vector_typeIfLj2EEPS0_S2_i
	.globl	_Z23comm_aosoa_naive_directPK15HIP_vector_typeIfLj2EEPS0_S2_i
	.p2align	8
	.type	_Z23comm_aosoa_naive_directPK15HIP_vector_typeIfLj2EEPS0_S2_i,@function
_Z23comm_aosoa_naive_directPK15HIP_vector_typeIfLj2EEPS0_S2_i: ; @_Z23comm_aosoa_naive_directPK15HIP_vector_typeIfLj2EEPS0_S2_i
; %bb.0:
	s_load_dword s8, s[4:5], 0x18
	s_waitcnt lgkmcnt(0)
	s_cmp_lt_i32 s8, 1
	s_cbranch_scc1 .LBB7_7
; %bb.1:
	s_load_dword s7, s[4:5], 0x2c
	s_load_dwordx4 s[0:3], s[4:5], 0x0
	s_load_dwordx2 s[10:11], s[4:5], 0x10
	s_lshl_b32 s22, s8, 4
	s_mul_i32 s4, s22, s8
	s_waitcnt lgkmcnt(0)
	s_and_b32 s5, s7, 0xffff
	s_mul_i32 s6, s6, s5
	v_add_u32_e32 v4, s6, v0
	v_ashrrev_i32_e32 v0, 31, v4
	v_lshrrev_b32_e32 v0, 29, v0
	v_add_u32_e32 v0, v4, v0
	v_ashrrev_i32_e32 v1, 3, v0
	s_mul_i32 s23, s8, s8
	v_mul_lo_u32 v5, s4, v1
	v_and_b32_e32 v0, -8, v0
	s_mov_b32 s5, 0
	s_lshl_b32 s4, s23, 4
	v_sub_u32_e32 v6, v4, v0
	s_mov_b32 s9, s5
	s_add_i32 s4, s4, -8
	v_add_u32_e32 v7, 8, v6
	s_lshl_b64 s[6:7], s[8:9], 2
	v_mul_lo_u32 v8, v1, s4
	v_mov_b32_e32 v9, s3
	v_mov_b32_e32 v10, s1
	;; [unrolled: 1-line block ×3, first 2 shown]
	s_mov_b64 s[12:13], s[10:11]
	s_mov_b32 s1, s23
	s_mov_b32 s3, 0
.LBB7_2:                                ; =>This Loop Header: Depth=1
                                        ;     Child Loop BB7_3 Depth 2
                                        ;       Child Loop BB7_4 Depth 3
	s_mul_i32 s9, s3, s8
	v_mov_b32_e32 v12, v4
	s_mov_b64 s[14:15], s[10:11]
	s_mov_b32 s24, s23
	s_mov_b32 s25, s5
.LBB7_3:                                ;   Parent Loop BB7_2 Depth=1
                                        ; =>  This Loop Header: Depth=2
                                        ;       Child Loop BB7_4 Depth 3
	s_add_i32 s4, s25, s9
	v_lshl_add_u32 v2, s4, 4, v5
	v_add_u32_e32 v0, v7, v2
	v_ashrrev_i32_e32 v1, 31, v0
	v_lshlrev_b64 v[0:1], 2, v[0:1]
	v_add_u32_e32 v2, v2, v6
	v_add_co_u32_e32 v0, vcc, s2, v0
	v_ashrrev_i32_e32 v3, 31, v2
	v_addc_co_u32_e32 v1, vcc, v9, v1, vcc
	v_lshlrev_b64 v[2:3], 2, v[2:3]
	v_add_co_u32_e32 v2, vcc, s2, v2
	v_addc_co_u32_e32 v3, vcc, v9, v3, vcc
	global_load_dword v15, v[0:1], off
	global_load_dword v13, v[2:3], off
	s_mov_b32 s26, 0
	v_mov_b32_e32 v14, v11
	s_mov_b64 s[16:17], s[12:13]
	v_mov_b32_e32 v16, v12
	s_mov_b64 s[18:19], s[14:15]
	s_mov_b32 s20, s24
.LBB7_4:                                ;   Parent Loop BB7_2 Depth=1
                                        ;     Parent Loop BB7_3 Depth=2
                                        ; =>    This Inner Loop Header: Depth=3
	v_add_u32_e32 v18, v8, v16
	v_ashrrev_i32_e32 v19, 31, v18
	v_add_u32_e32 v20, v8, v14
	v_add_u32_e32 v22, 8, v18
	v_lshlrev_b64 v[18:19], 2, v[18:19]
	v_ashrrev_i32_e32 v21, 31, v20
	v_add_co_u32_e32 v18, vcc, s0, v18
	v_add_u32_e32 v24, 8, v20
	v_lshlrev_b64 v[20:21], 2, v[20:21]
	v_addc_co_u32_e32 v19, vcc, v10, v19, vcc
	v_ashrrev_i32_e32 v23, 31, v22
	v_add_co_u32_e32 v20, vcc, s0, v20
	v_addc_co_u32_e32 v21, vcc, v10, v21, vcc
	v_lshlrev_b64 v[22:23], 2, v[22:23]
	v_ashrrev_i32_e32 v25, 31, v24
	global_load_dword v17, v[18:19], off
	global_load_dword v26, v[20:21], off
	v_add_co_u32_e32 v18, vcc, s0, v22
	v_lshlrev_b64 v[24:25], 2, v[24:25]
	v_addc_co_u32_e32 v19, vcc, v10, v23, vcc
	v_add_co_u32_e32 v20, vcc, s0, v24
	v_addc_co_u32_e32 v21, vcc, v10, v25, vcc
	global_load_dword v22, v[18:19], off
	global_load_dword v23, v[20:21], off
	s_add_i32 s4, s1, s26
	s_lshl_b64 s[28:29], s[4:5], 2
	s_add_u32 s28, s10, s28
	s_addc_u32 s29, s11, s29
	s_ashr_i32 s21, s20, 31
	s_load_dword s27, s[16:17], 0x0
	s_load_dword s30, s[18:19], 0x0
	;; [unrolled: 1-line block ×3, first 2 shown]
	s_lshl_b64 s[28:29], s[20:21], 2
	s_add_u32 s28, s10, s28
	s_addc_u32 s29, s11, s29
	s_load_dword s21, s[28:29], 0x0
	s_add_i32 s26, s26, 1
	s_add_i32 s20, s20, s8
	s_add_u32 s18, s18, s6
	s_addc_u32 s19, s19, s7
	s_add_u32 s16, s16, 4
	s_addc_u32 s17, s17, 0
	v_add_u32_e32 v16, s22, v16
	v_add_u32_e32 v14, 16, v14
	s_cmp_eq_u32 s8, s26
	s_waitcnt vmcnt(3) lgkmcnt(0)
	v_fma_f32 v15, -s27, v17, v15
	s_waitcnt vmcnt(2)
	v_fmac_f32_e32 v15, s30, v26
	s_waitcnt vmcnt(1)
	v_fmac_f32_e32 v13, s27, v22
	v_fma_f32 v13, -v26, s21, v13
	v_fmac_f32_e32 v15, s4, v22
	v_fmac_f32_e32 v13, s4, v17
	s_waitcnt vmcnt(0)
	v_fma_f32 v15, -v23, s21, v15
	v_fma_f32 v13, -s30, v23, v13
	s_cbranch_scc0 .LBB7_4
; %bb.5:                                ;   in Loop: Header=BB7_3 Depth=2
	s_add_i32 s25, s25, 1
	s_add_i32 s24, s24, 1
	s_add_u32 s14, s14, 4
	s_addc_u32 s15, s15, 0
	s_cmp_eq_u32 s25, s8
	v_add_u32_e32 v12, 16, v12
	global_store_dword v[0:1], v15, off
	global_store_dword v[2:3], v13, off
	s_cbranch_scc0 .LBB7_3
; %bb.6:                                ;   in Loop: Header=BB7_2 Depth=1
	s_add_i32 s3, s3, 1
	s_add_i32 s1, s1, s8
	s_add_u32 s12, s12, s6
	s_addc_u32 s13, s13, s7
	s_cmp_eq_u32 s3, s8
	v_add_u32_e32 v11, s22, v11
	s_cbranch_scc0 .LBB7_2
.LBB7_7:
	s_endpgm
	.section	.rodata,"a",@progbits
	.p2align	6, 0x0
	.amdhsa_kernel _Z23comm_aosoa_naive_directPK15HIP_vector_typeIfLj2EEPS0_S2_i
		.amdhsa_group_segment_fixed_size 0
		.amdhsa_private_segment_fixed_size 0
		.amdhsa_kernarg_size 288
		.amdhsa_user_sgpr_count 6
		.amdhsa_user_sgpr_private_segment_buffer 1
		.amdhsa_user_sgpr_dispatch_ptr 0
		.amdhsa_user_sgpr_queue_ptr 0
		.amdhsa_user_sgpr_kernarg_segment_ptr 1
		.amdhsa_user_sgpr_dispatch_id 0
		.amdhsa_user_sgpr_flat_scratch_init 0
		.amdhsa_user_sgpr_kernarg_preload_length 0
		.amdhsa_user_sgpr_kernarg_preload_offset 0
		.amdhsa_user_sgpr_private_segment_size 0
		.amdhsa_uses_dynamic_stack 0
		.amdhsa_system_sgpr_private_segment_wavefront_offset 0
		.amdhsa_system_sgpr_workgroup_id_x 1
		.amdhsa_system_sgpr_workgroup_id_y 0
		.amdhsa_system_sgpr_workgroup_id_z 0
		.amdhsa_system_sgpr_workgroup_info 0
		.amdhsa_system_vgpr_workitem_id 0
		.amdhsa_next_free_vgpr 27
		.amdhsa_next_free_sgpr 31
		.amdhsa_accum_offset 28
		.amdhsa_reserve_vcc 1
		.amdhsa_reserve_flat_scratch 0
		.amdhsa_float_round_mode_32 0
		.amdhsa_float_round_mode_16_64 0
		.amdhsa_float_denorm_mode_32 3
		.amdhsa_float_denorm_mode_16_64 3
		.amdhsa_dx10_clamp 1
		.amdhsa_ieee_mode 1
		.amdhsa_fp16_overflow 0
		.amdhsa_tg_split 0
		.amdhsa_exception_fp_ieee_invalid_op 0
		.amdhsa_exception_fp_denorm_src 0
		.amdhsa_exception_fp_ieee_div_zero 0
		.amdhsa_exception_fp_ieee_overflow 0
		.amdhsa_exception_fp_ieee_underflow 0
		.amdhsa_exception_fp_ieee_inexact 0
		.amdhsa_exception_int_div_zero 0
	.end_amdhsa_kernel
	.text
.Lfunc_end7:
	.size	_Z23comm_aosoa_naive_directPK15HIP_vector_typeIfLj2EEPS0_S2_i, .Lfunc_end7-_Z23comm_aosoa_naive_directPK15HIP_vector_typeIfLj2EEPS0_S2_i
                                        ; -- End function
	.section	.AMDGPU.csdata,"",@progbits
; Kernel info:
; codeLenInByte = 656
; NumSgprs: 35
; NumVgprs: 27
; NumAgprs: 0
; TotalNumVgprs: 27
; ScratchSize: 0
; MemoryBound: 0
; FloatMode: 240
; IeeeMode: 1
; LDSByteSize: 0 bytes/workgroup (compile time only)
; SGPRBlocks: 4
; VGPRBlocks: 3
; NumSGPRsForWavesPerEU: 35
; NumVGPRsForWavesPerEU: 27
; AccumOffset: 28
; Occupancy: 8
; WaveLimiterHint : 0
; COMPUTE_PGM_RSRC2:SCRATCH_EN: 0
; COMPUTE_PGM_RSRC2:USER_SGPR: 6
; COMPUTE_PGM_RSRC2:TRAP_HANDLER: 0
; COMPUTE_PGM_RSRC2:TGID_X_EN: 1
; COMPUTE_PGM_RSRC2:TGID_Y_EN: 0
; COMPUTE_PGM_RSRC2:TGID_Z_EN: 0
; COMPUTE_PGM_RSRC2:TIDIG_COMP_CNT: 0
; COMPUTE_PGM_RSRC3_GFX90A:ACCUM_OFFSET: 6
; COMPUTE_PGM_RSRC3_GFX90A:TG_SPLIT: 0
	.text
	.protected	_Z33comm_aosoa_naive_constants_directPK15HIP_vector_typeIfLj2EEPS0_S2_ ; -- Begin function _Z33comm_aosoa_naive_constants_directPK15HIP_vector_typeIfLj2EEPS0_S2_
	.globl	_Z33comm_aosoa_naive_constants_directPK15HIP_vector_typeIfLj2EEPS0_S2_
	.p2align	8
	.type	_Z33comm_aosoa_naive_constants_directPK15HIP_vector_typeIfLj2EEPS0_S2_,@function
_Z33comm_aosoa_naive_constants_directPK15HIP_vector_typeIfLj2EEPS0_S2_: ; @_Z33comm_aosoa_naive_constants_directPK15HIP_vector_typeIfLj2EEPS0_S2_
; %bb.0:
	s_load_dword s7, s[4:5], 0x24
	s_load_dwordx4 s[0:3], s[4:5], 0x0
	s_load_dwordx2 s[12:13], s[4:5], 0x10
	s_mov_b32 s17, 0
	s_mov_b32 s26, 0
	s_waitcnt lgkmcnt(0)
	s_and_b32 s4, s7, 0xffff
	s_mul_i32 s6, s6, s4
	v_add_u32_e32 v0, s6, v0
	v_ashrrev_i32_e32 v1, 31, v0
	v_lshrrev_b32_e32 v1, 29, v1
	v_add_u32_e32 v1, v0, v1
	v_ashrrev_i32_e32 v2, 3, v1
	s_movk_i32 s4, 0x310
	v_mul_lo_u32 v6, v2, s4
	v_and_b32_e32 v1, -8, v1
	s_movk_i32 s4, 0x308
	v_sub_u32_e32 v7, v0, v1
	v_mad_u64_u32 v[0:1], s[4:5], v2, s4, v[0:1]
	s_add_u32 s14, s12, 0x16c
	v_add_u32_e32 v8, 8, v7
	s_addc_u32 s15, s13, 0
	v_mov_b32_e32 v1, s1
	v_mov_b32_e32 v9, v0
.LBB8_1:                                ; =>This Loop Header: Depth=1
                                        ;     Child Loop BB8_2 Depth 2
	s_mul_i32 s16, s26, 7
	s_lshl_b64 s[4:5], s[16:17], 2
	s_add_u32 s22, s12, s4
	s_mul_i32 s4, s26, 0x70
	v_add_u32_e32 v4, s4, v6
	v_add_u32_e32 v2, v4, v7
	v_ashrrev_i32_e32 v3, 31, v2
	s_addc_u32 s23, s13, s5
	v_lshlrev_b64 v[2:3], 2, v[2:3]
	v_add_u32_e32 v4, v8, v4
	s_lshl_b32 s4, s16, 4
	v_add_co_u32_e32 v2, vcc, s0, v2
	v_ashrrev_i32_e32 v5, 31, v4
	v_add3_u32 v12, s4, 16, v6
	v_addc_co_u32_e32 v3, vcc, v1, v3, vcc
	v_lshlrev_b64 v[4:5], 2, v[4:5]
	v_add_u32_e32 v10, v12, v7
	v_add_co_u32_e32 v4, vcc, s0, v4
	v_ashrrev_i32_e32 v11, 31, v10
	v_addc_co_u32_e32 v5, vcc, v1, v5, vcc
	v_lshlrev_b64 v[10:11], 2, v[10:11]
	v_add_co_u32_e32 v18, vcc, s0, v10
	v_add_u32_e32 v10, v8, v12
	v_addc_co_u32_e32 v19, vcc, v1, v11, vcc
	v_ashrrev_i32_e32 v11, 31, v10
	v_lshlrev_b64 v[10:11], 2, v[10:11]
	v_add3_u32 v12, s4, 32, v6
	v_add_co_u32_e32 v20, vcc, s0, v10
	v_add_u32_e32 v10, v12, v7
	v_addc_co_u32_e32 v21, vcc, v1, v11, vcc
	v_ashrrev_i32_e32 v11, 31, v10
	v_lshlrev_b64 v[10:11], 2, v[10:11]
	v_add_co_u32_e32 v22, vcc, s0, v10
	v_add_u32_e32 v10, v8, v12
	v_addc_co_u32_e32 v23, vcc, v1, v11, vcc
	v_ashrrev_i32_e32 v11, 31, v10
	v_lshlrev_b64 v[10:11], 2, v[10:11]
	v_add3_u32 v12, s4, 48, v6
	v_add_co_u32_e32 v24, vcc, s0, v10
	v_add_u32_e32 v10, v12, v7
	v_addc_co_u32_e32 v25, vcc, v1, v11, vcc
	v_ashrrev_i32_e32 v11, 31, v10
	v_lshlrev_b64 v[10:11], 2, v[10:11]
	v_add_co_u32_e32 v26, vcc, s0, v10
	v_add_u32_e32 v10, v8, v12
	v_addc_co_u32_e32 v27, vcc, v1, v11, vcc
	v_ashrrev_i32_e32 v11, 31, v10
	v_lshlrev_b64 v[10:11], 2, v[10:11]
	v_add_co_u32_e32 v28, vcc, s0, v10
	v_addc_co_u32_e32 v29, vcc, v1, v11, vcc
	global_load_dword v10, v[2:3], off
	global_load_dword v11, v[4:5], off
	;; [unrolled: 1-line block ×8, first 2 shown]
	v_add3_u32 v4, s4, 64, v6
	v_add_u32_e32 v2, v4, v7
	v_ashrrev_i32_e32 v3, 31, v2
	v_lshlrev_b64 v[2:3], 2, v[2:3]
	v_add_u32_e32 v4, v8, v4
	s_add_i32 s5, s4, 0x50
	v_add_co_u32_e32 v2, vcc, s0, v2
	v_ashrrev_i32_e32 v5, 31, v4
	v_add_u32_e32 v20, s5, v6
	v_addc_co_u32_e32 v3, vcc, v1, v3, vcc
	v_lshlrev_b64 v[4:5], 2, v[4:5]
	v_add_u32_e32 v18, v20, v7
	v_add_co_u32_e32 v4, vcc, s0, v4
	v_ashrrev_i32_e32 v19, 31, v18
	v_addc_co_u32_e32 v5, vcc, v1, v5, vcc
	v_lshlrev_b64 v[18:19], 2, v[18:19]
	v_add_co_u32_e32 v24, vcc, s0, v18
	v_add_u32_e32 v18, v8, v20
	v_addc_co_u32_e32 v25, vcc, v1, v19, vcc
	v_ashrrev_i32_e32 v19, 31, v18
	s_addk_i32 s4, 0x60
	v_lshlrev_b64 v[18:19], 2, v[18:19]
	v_add_u32_e32 v20, s4, v6
	v_add_co_u32_e32 v26, vcc, s0, v18
	v_add_u32_e32 v18, v20, v7
	v_addc_co_u32_e32 v27, vcc, v1, v19, vcc
	v_ashrrev_i32_e32 v19, 31, v18
	v_lshlrev_b64 v[18:19], 2, v[18:19]
	v_add_co_u32_e32 v28, vcc, s0, v18
	v_add_u32_e32 v18, v8, v20
	v_addc_co_u32_e32 v29, vcc, v1, v19, vcc
	v_ashrrev_i32_e32 v19, 31, v18
	v_lshlrev_b64 v[18:19], 2, v[18:19]
	v_add_co_u32_e32 v30, vcc, s0, v18
	v_addc_co_u32_e32 v31, vcc, v1, v19, vcc
	global_load_dword v18, v[2:3], off
	global_load_dword v19, v[4:5], off
	;; [unrolled: 1-line block ×6, first 2 shown]
	s_load_dwordx4 s[4:7], s[22:23], 0x0
	s_load_dwordx2 s[18:19], s[22:23], 0x10
	s_load_dword s16, s[22:23], 0x18
	s_load_dwordx4 s[8:11], s[22:23], 0xc4
	s_load_dwordx2 s[20:21], s[22:23], 0xd4
	s_load_dword s27, s[22:23], 0xdc
	s_mov_b64 s[22:23], s[14:15]
	s_mov_b32 s28, 0
.LBB8_2:                                ;   Parent Loop BB8_1 Depth=1
                                        ; =>  This Inner Loop Header: Depth=2
	v_add_u32_e32 v2, s28, v9
	v_ashrrev_i32_e32 v3, 31, v2
	v_add_u32_e32 v4, s28, v0
	v_add_u32_e32 v26, 8, v2
	v_lshlrev_b64 v[2:3], 2, v[2:3]
	v_mov_b32_e32 v25, s3
	v_ashrrev_i32_e32 v5, 31, v4
	v_add_co_u32_e32 v2, vcc, s2, v2
	v_add_u32_e32 v28, 8, v4
	v_add_u32_e32 v30, 0x70, v4
	;; [unrolled: 1-line block ×13, first 2 shown]
	v_lshlrev_b64 v[4:5], 2, v[4:5]
	v_addc_co_u32_e32 v3, vcc, v25, v3, vcc
	v_mov_b32_e32 v24, s1
	v_ashrrev_i32_e32 v27, 31, v26
	v_add_co_u32_e32 v54, vcc, s0, v4
	v_lshlrev_b64 v[26:27], 2, v[26:27]
	v_addc_co_u32_e32 v55, vcc, v24, v5, vcc
	v_ashrrev_i32_e32 v29, 31, v28
	v_add_co_u32_e32 v4, vcc, s2, v26
	v_lshlrev_b64 v[28:29], 2, v[28:29]
	v_addc_co_u32_e32 v5, vcc, v25, v27, vcc
	v_ashrrev_i32_e32 v31, 31, v30
	v_add_co_u32_e32 v26, vcc, s0, v28
	v_lshlrev_b64 v[30:31], 2, v[30:31]
	v_addc_co_u32_e32 v27, vcc, v24, v29, vcc
	v_ashrrev_i32_e32 v33, 31, v32
	v_add_co_u32_e32 v28, vcc, s0, v30
	v_lshlrev_b64 v[32:33], 2, v[32:33]
	v_addc_co_u32_e32 v29, vcc, v24, v31, vcc
	v_ashrrev_i32_e32 v35, 31, v34
	v_add_co_u32_e32 v30, vcc, s0, v32
	v_lshlrev_b64 v[34:35], 2, v[34:35]
	v_addc_co_u32_e32 v31, vcc, v24, v33, vcc
	v_ashrrev_i32_e32 v37, 31, v36
	v_add_co_u32_e32 v32, vcc, s0, v34
	v_lshlrev_b64 v[36:37], 2, v[36:37]
	v_addc_co_u32_e32 v33, vcc, v24, v35, vcc
	v_ashrrev_i32_e32 v39, 31, v38
	v_add_co_u32_e32 v34, vcc, s0, v36
	v_lshlrev_b64 v[38:39], 2, v[38:39]
	v_addc_co_u32_e32 v35, vcc, v24, v37, vcc
	v_ashrrev_i32_e32 v41, 31, v40
	v_add_co_u32_e32 v36, vcc, s0, v38
	v_lshlrev_b64 v[40:41], 2, v[40:41]
	v_addc_co_u32_e32 v37, vcc, v24, v39, vcc
	v_ashrrev_i32_e32 v43, 31, v42
	v_add_co_u32_e32 v38, vcc, s0, v40
	v_lshlrev_b64 v[42:43], 2, v[42:43]
	v_addc_co_u32_e32 v39, vcc, v24, v41, vcc
	v_ashrrev_i32_e32 v45, 31, v44
	global_load_dword v25, v[54:55], off
	v_add_co_u32_e32 v40, vcc, s0, v42
	v_lshlrev_b64 v[44:45], 2, v[44:45]
	v_addc_co_u32_e32 v41, vcc, v24, v43, vcc
	v_ashrrev_i32_e32 v47, 31, v46
	v_add_co_u32_e32 v42, vcc, s0, v44
	v_lshlrev_b64 v[46:47], 2, v[46:47]
	v_addc_co_u32_e32 v43, vcc, v24, v45, vcc
	v_ashrrev_i32_e32 v49, 31, v48
	;; [unrolled: 4-line block ×3, first 2 shown]
	v_add_co_u32_e32 v46, vcc, s0, v48
	s_add_u32 s24, s22, 0xfffffe94
	v_lshlrev_b64 v[50:51], 2, v[50:51]
	v_addc_co_u32_e32 v47, vcc, v24, v49, vcc
	s_addc_u32 s25, s23, -1
	v_ashrrev_i32_e32 v53, 31, v52
	v_add_co_u32_e32 v48, vcc, s0, v50
	s_load_dword s29, s[22:23], 0x0
	s_load_dword s30, s[24:25], 0x0
	s_add_u32 s24, s22, 0xffffff58
	v_lshlrev_b64 v[52:53], 2, v[52:53]
	v_addc_co_u32_e32 v49, vcc, v24, v51, vcc
	s_addc_u32 s25, s23, -1
	v_add_co_u32_e32 v50, vcc, s0, v52
	s_load_dword s31, s[24:25], 0x0
	v_addc_co_u32_e32 v51, vcc, v24, v53, vcc
	global_load_dword v24, v[4:5], off
	global_load_dword v52, v[2:3], off
	;; [unrolled: 1-line block ×15, first 2 shown]
	s_add_u32 s24, s22, 0xfffffeb0
	s_addc_u32 s25, s23, -1
	s_load_dword s33, s[24:25], 0x0
	s_add_u32 s24, s22, 0xffffff74
	s_addc_u32 s25, s23, -1
	s_load_dword s34, s[24:25], 0x0
	;; [unrolled: 3-line block ×11, first 2 shown]
	s_add_i32 s28, s28, 16
	s_add_u32 s22, s22, 4
	s_addc_u32 s23, s23, 0
	s_cmpk_lg_i32 s28, 0x70
	s_waitcnt vmcnt(14) lgkmcnt(0)
	v_fma_f32 v24, -s4, v25, v24
	v_fmac_f32_e32 v24, s30, v10
	s_waitcnt vmcnt(12)
	v_fmac_f32_e32 v52, s4, v53
	v_fma_f32 v28, -v10, s31, v52
	v_fmac_f32_e32 v24, s8, v53
	v_fmac_f32_e32 v28, s8, v25
	v_fma_f32 v24, -v11, s31, v24
	v_fma_f32 v25, -s30, v11, v28
	s_waitcnt vmcnt(11)
	v_fma_f32 v24, -s5, v54, v24
	s_waitcnt vmcnt(10)
	v_fmac_f32_e32 v25, s5, v55
	v_fmac_f32_e32 v24, s33, v12
	v_fma_f32 v25, -v12, s34, v25
	v_fmac_f32_e32 v24, s9, v55
	v_fmac_f32_e32 v25, s9, v54
	v_fma_f32 v24, -v13, s34, v24
	v_fma_f32 v25, -s33, v13, v25
	s_waitcnt vmcnt(9)
	v_fma_f32 v24, -s6, v56, v24
	s_waitcnt vmcnt(8)
	v_fmac_f32_e32 v25, s6, v57
	;; [unrolled: 10-line block ×6, first 2 shown]
	v_fmac_f32_e32 v24, s24, v22
	v_fma_f32 v25, -v22, s29, v25
	v_fmac_f32_e32 v24, s27, v27
	v_fmac_f32_e32 v25, s27, v26
	v_fma_f32 v24, -v23, s29, v24
	v_fma_f32 v25, -s24, v23, v25
	global_store_dword v[4:5], v24, off
	global_store_dword v[2:3], v25, off
	s_cbranch_scc1 .LBB8_2
; %bb.3:                                ;   in Loop: Header=BB8_1 Depth=1
	s_add_i32 s26, s26, 1
	s_cmp_eq_u32 s26, 7
	v_add_u32_e32 v9, 0x70, v9
	s_cbranch_scc0 .LBB8_1
; %bb.4:
	s_endpgm
	.section	.rodata,"a",@progbits
	.p2align	6, 0x0
	.amdhsa_kernel _Z33comm_aosoa_naive_constants_directPK15HIP_vector_typeIfLj2EEPS0_S2_
		.amdhsa_group_segment_fixed_size 0
		.amdhsa_private_segment_fixed_size 0
		.amdhsa_kernarg_size 280
		.amdhsa_user_sgpr_count 6
		.amdhsa_user_sgpr_private_segment_buffer 1
		.amdhsa_user_sgpr_dispatch_ptr 0
		.amdhsa_user_sgpr_queue_ptr 0
		.amdhsa_user_sgpr_kernarg_segment_ptr 1
		.amdhsa_user_sgpr_dispatch_id 0
		.amdhsa_user_sgpr_flat_scratch_init 0
		.amdhsa_user_sgpr_kernarg_preload_length 0
		.amdhsa_user_sgpr_kernarg_preload_offset 0
		.amdhsa_user_sgpr_private_segment_size 0
		.amdhsa_uses_dynamic_stack 0
		.amdhsa_system_sgpr_private_segment_wavefront_offset 0
		.amdhsa_system_sgpr_workgroup_id_x 1
		.amdhsa_system_sgpr_workgroup_id_y 0
		.amdhsa_system_sgpr_workgroup_id_z 0
		.amdhsa_system_sgpr_workgroup_info 0
		.amdhsa_system_vgpr_workitem_id 0
		.amdhsa_next_free_vgpr 64
		.amdhsa_next_free_sgpr 43
		.amdhsa_accum_offset 64
		.amdhsa_reserve_vcc 1
		.amdhsa_reserve_flat_scratch 0
		.amdhsa_float_round_mode_32 0
		.amdhsa_float_round_mode_16_64 0
		.amdhsa_float_denorm_mode_32 3
		.amdhsa_float_denorm_mode_16_64 3
		.amdhsa_dx10_clamp 1
		.amdhsa_ieee_mode 1
		.amdhsa_fp16_overflow 0
		.amdhsa_tg_split 0
		.amdhsa_exception_fp_ieee_invalid_op 0
		.amdhsa_exception_fp_denorm_src 0
		.amdhsa_exception_fp_ieee_div_zero 0
		.amdhsa_exception_fp_ieee_overflow 0
		.amdhsa_exception_fp_ieee_underflow 0
		.amdhsa_exception_fp_ieee_inexact 0
		.amdhsa_exception_int_div_zero 0
	.end_amdhsa_kernel
	.text
.Lfunc_end8:
	.size	_Z33comm_aosoa_naive_constants_directPK15HIP_vector_typeIfLj2EEPS0_S2_, .Lfunc_end8-_Z33comm_aosoa_naive_constants_directPK15HIP_vector_typeIfLj2EEPS0_S2_
                                        ; -- End function
	.section	.AMDGPU.csdata,"",@progbits
; Kernel info:
; codeLenInByte = 2000
; NumSgprs: 47
; NumVgprs: 64
; NumAgprs: 0
; TotalNumVgprs: 64
; ScratchSize: 0
; MemoryBound: 0
; FloatMode: 240
; IeeeMode: 1
; LDSByteSize: 0 bytes/workgroup (compile time only)
; SGPRBlocks: 5
; VGPRBlocks: 7
; NumSGPRsForWavesPerEU: 47
; NumVGPRsForWavesPerEU: 64
; AccumOffset: 64
; Occupancy: 8
; WaveLimiterHint : 0
; COMPUTE_PGM_RSRC2:SCRATCH_EN: 0
; COMPUTE_PGM_RSRC2:USER_SGPR: 6
; COMPUTE_PGM_RSRC2:TRAP_HANDLER: 0
; COMPUTE_PGM_RSRC2:TGID_X_EN: 1
; COMPUTE_PGM_RSRC2:TGID_Y_EN: 0
; COMPUTE_PGM_RSRC2:TGID_Z_EN: 0
; COMPUTE_PGM_RSRC2:TIDIG_COMP_CNT: 0
; COMPUTE_PGM_RSRC3_GFX90A:ACCUM_OFFSET: 15
; COMPUTE_PGM_RSRC3_GFX90A:TG_SPLIT: 0
	.text
	.protected	_Z38comm_aosoa_naive_constants_direct_permPK15HIP_vector_typeIfLj2EEPS0_S2_ ; -- Begin function _Z38comm_aosoa_naive_constants_direct_permPK15HIP_vector_typeIfLj2EEPS0_S2_
	.globl	_Z38comm_aosoa_naive_constants_direct_permPK15HIP_vector_typeIfLj2EEPS0_S2_
	.p2align	8
	.type	_Z38comm_aosoa_naive_constants_direct_permPK15HIP_vector_typeIfLj2EEPS0_S2_,@function
_Z38comm_aosoa_naive_constants_direct_permPK15HIP_vector_typeIfLj2EEPS0_S2_: ; @_Z38comm_aosoa_naive_constants_direct_permPK15HIP_vector_typeIfLj2EEPS0_S2_
; %bb.0:
	s_load_dword s0, s[4:5], 0x24
	s_load_dwordx4 s[8:11], s[4:5], 0x0
	s_load_dwordx2 s[2:3], s[4:5], 0x10
	s_mov_b32 s24, 0
	s_mov_b64 s[16:17], 0xc4
	s_waitcnt lgkmcnt(0)
	s_and_b32 s0, s0, 0xffff
	s_mul_i32 s6, s6, s0
	v_add_u32_e32 v36, s6, v0
	v_ashrrev_i32_e32 v0, 31, v36
	v_lshrrev_b32_e32 v0, 29, v0
	v_add_u32_e32 v0, v36, v0
	v_ashrrev_i32_e32 v1, 3, v0
	s_movk_i32 s0, 0x310
	v_and_b32_e32 v0, -8, v0
	v_mul_lo_u32 v37, v1, s0
	v_sub_u32_e32 v38, v36, v0
	s_movk_i32 s0, 0x308
	v_add_u32_e32 v39, 8, v38
	v_mul_lo_u32 v40, v1, s0
	v_mov_b32_e32 v41, s11
	v_mov_b32_e32 v42, v36
.LBB9_1:                                ; =>This Loop Header: Depth=1
                                        ;     Child Loop BB9_2 Depth 2
	s_mul_i32 s0, s24, 0x70
	v_add_u32_e32 v24, s0, v37
	v_add_u32_e32 v0, v39, v24
	v_ashrrev_i32_e32 v1, 31, v0
	v_lshlrev_b64 v[0:1], 2, v[0:1]
	v_add_u32_e32 v2, v24, v38
	v_add_co_u32_e32 v0, vcc, s10, v0
	v_ashrrev_i32_e32 v3, 31, v2
	v_add_u32_e32 v6, 16, v24
	v_addc_co_u32_e32 v1, vcc, v41, v1, vcc
	v_lshlrev_b64 v[2:3], 2, v[2:3]
	v_add_u32_e32 v4, v39, v6
	v_add_co_u32_e32 v2, vcc, s10, v2
	v_ashrrev_i32_e32 v5, 31, v4
	v_addc_co_u32_e32 v3, vcc, v41, v3, vcc
	v_lshlrev_b64 v[4:5], 2, v[4:5]
	v_add_u32_e32 v6, v6, v38
	v_add_co_u32_e32 v4, vcc, s10, v4
	v_ashrrev_i32_e32 v7, 31, v6
	v_add_u32_e32 v10, 32, v24
	v_addc_co_u32_e32 v5, vcc, v41, v5, vcc
	v_lshlrev_b64 v[6:7], 2, v[6:7]
	v_add_u32_e32 v8, v39, v10
	v_add_co_u32_e32 v6, vcc, s10, v6
	v_ashrrev_i32_e32 v9, 31, v8
	v_addc_co_u32_e32 v7, vcc, v41, v7, vcc
	;; [unrolled: 11-line block ×6, first 2 shown]
	v_lshlrev_b64 v[24:25], 2, v[24:25]
	v_add_u32_e32 v26, v26, v38
	v_add_co_u32_e32 v24, vcc, s10, v24
	v_ashrrev_i32_e32 v27, 31, v26
	v_addc_co_u32_e32 v25, vcc, v41, v25, vcc
	v_lshlrev_b64 v[26:27], 2, v[26:27]
	v_add_co_u32_e32 v26, vcc, s10, v26
	v_addc_co_u32_e32 v27, vcc, v41, v27, vcc
	s_mov_b64 s[18:19], 0
	v_mov_b32_e32 v43, v42
	v_mov_b32_e32 v44, v36
	s_mov_b64 s[20:21], s[16:17]
.LBB9_2:                                ;   Parent Loop BB9_1 Depth=1
                                        ; =>  This Inner Loop Header: Depth=2
	v_add_u32_e32 v30, v40, v43
	v_add_u32_e32 v28, v40, v44
	v_ashrrev_i32_e32 v31, 31, v30
	v_ashrrev_i32_e32 v29, 31, v28
	v_add_u32_e32 v34, 8, v30
	v_add_u32_e32 v32, 8, v28
	v_lshlrev_b64 v[30:31], 2, v[30:31]
	v_lshlrev_b64 v[46:47], 2, v[28:29]
	v_mov_b32_e32 v45, s9
	v_ashrrev_i32_e32 v35, 31, v34
	v_ashrrev_i32_e32 v33, 31, v32
	v_add_co_u32_e32 v30, vcc, s8, v30
	v_add_co_u32_e64 v46, s[0:1], s8, v46
	v_lshlrev_b64 v[34:35], 2, v[34:35]
	v_lshlrev_b64 v[32:33], 2, v[32:33]
	v_addc_co_u32_e32 v31, vcc, v45, v31, vcc
	v_addc_co_u32_e64 v47, vcc, v45, v47, s[0:1]
	global_load_dword v48, v[0:1], off
	global_load_dword v49, v[2:3], off
	v_add_co_u32_e32 v34, vcc, s8, v34
	v_add_co_u32_e64 v32, s[0:1], s8, v32
	global_load_dword v29, v[30:31], off
	v_addc_co_u32_e32 v35, vcc, v45, v35, vcc
	v_addc_co_u32_e64 v33, vcc, v45, v33, s[0:1]
	global_load_dword v31, v[46:47], off
	global_load_dword v50, v[32:33], off
	;; [unrolled: 1-line block ×3, first 2 shown]
	s_add_u32 s0, s2, s20
	s_addc_u32 s1, s3, s21
	v_add_u32_e32 v32, 16, v28
	s_add_u32 s4, s0, 0xffffff3c
	v_ashrrev_i32_e32 v33, 31, v32
	s_addc_u32 s5, s1, -1
	v_lshlrev_b64 v[32:33], 2, v[32:33]
	s_load_dword s11, s[0:1], 0x0
	s_load_dword s25, s[4:5], 0x0
	s_add_u32 s22, s2, s18
	v_add_co_u32_e32 v32, vcc, s8, v32
	v_addc_co_u32_e32 v33, vcc, v45, v33, vcc
	s_addc_u32 s23, s3, s19
	global_load_dword v46, v[32:33], off
	s_load_dwordx4 s[4:7], s[22:23], 0x0
	s_load_dwordx4 s[12:15], s[22:23], 0xc4
	v_add_u32_e32 v34, 24, v28
	v_ashrrev_i32_e32 v35, 31, v34
	v_lshlrev_b64 v[34:35], 2, v[34:35]
	v_add_co_u32_e64 v34, s[0:1], s8, v34
	v_addc_co_u32_e64 v35, vcc, v45, v35, s[0:1]
	global_load_dword v47, v[34:35], off
	v_add_u32_e32 v34, 40, v28
	v_ashrrev_i32_e32 v35, 31, v34
	v_lshlrev_b64 v[34:35], 2, v[34:35]
	v_add_co_u32_e64 v34, s[0:1], s8, v34
	s_add_u32 s20, s20, 4
	s_addc_u32 s21, s21, 0
	s_add_u32 s18, s18, 28
	s_addc_u32 s19, s19, 0
	v_add_u32_e32 v44, 0x70, v44
	v_add_u32_e32 v43, 16, v43
	s_cmpk_eq_i32 s18, 0xc4
	s_waitcnt vmcnt(4) lgkmcnt(0)
	v_fma_f32 v32, -s25, v31, v48
	s_waitcnt vmcnt(3)
	v_fmac_f32_e32 v49, s25, v50
	v_fmac_f32_e32 v32, s4, v29
	v_fma_f32 v33, -v29, s12, v49
	v_fmac_f32_e32 v32, s11, v50
	v_fmac_f32_e32 v33, s11, v31
	s_waitcnt vmcnt(2)
	v_fma_f32 v31, -v30, s12, v32
	v_fma_f32 v32, -v30, s4, v33
	global_store_dword v[0:1], v31, off
	global_store_dword v[2:3], v32, off
	global_load_dword v31, v[6:7], off
	s_nop 0
	global_load_dword v48, v[4:5], off
	v_add_u32_e32 v32, 32, v28
	v_ashrrev_i32_e32 v33, 31, v32
	v_lshlrev_b64 v[32:33], 2, v[32:33]
	v_add_co_u32_e32 v32, vcc, s8, v32
	v_addc_co_u32_e32 v33, vcc, v45, v33, vcc
	v_addc_co_u32_e64 v35, vcc, v45, v35, s[0:1]
	global_load_dword v49, v[32:33], off
	global_load_dword v50, v[34:35], off
	v_add_u32_e32 v34, 56, v28
	v_ashrrev_i32_e32 v35, 31, v34
	v_lshlrev_b64 v[34:35], 2, v[34:35]
	v_add_co_u32_e64 v34, s[0:1], s8, v34
	s_waitcnt vmcnt(3)
	v_fmac_f32_e32 v31, s25, v47
	s_waitcnt vmcnt(2)
	v_fma_f32 v32, -s25, v46, v48
	v_fma_f32 v31, -v29, s13, v31
	v_fmac_f32_e32 v32, s5, v29
	v_fmac_f32_e32 v31, s11, v46
	;; [unrolled: 1-line block ×3, first 2 shown]
	v_fma_f32 v31, -v30, s5, v31
	v_fma_f32 v32, -v30, s13, v32
	global_store_dword v[6:7], v31, off
	global_store_dword v[4:5], v32, off
	global_load_dword v31, v[8:9], off
	s_nop 0
	global_load_dword v46, v[10:11], off
	v_add_u32_e32 v32, 48, v28
	v_ashrrev_i32_e32 v33, 31, v32
	v_lshlrev_b64 v[32:33], 2, v[32:33]
	v_add_co_u32_e32 v32, vcc, s8, v32
	v_addc_co_u32_e32 v33, vcc, v45, v33, vcc
	v_addc_co_u32_e64 v35, vcc, v45, v35, s[0:1]
	global_load_dword v47, v[32:33], off
	global_load_dword v48, v[34:35], off
	v_add_u32_e32 v34, 0x48, v28
	v_ashrrev_i32_e32 v35, 31, v34
	v_lshlrev_b64 v[34:35], 2, v[34:35]
	v_add_co_u32_e64 v34, s[0:1], s8, v34
	s_waitcnt vmcnt(3)
	v_fma_f32 v31, -s25, v49, v31
	s_waitcnt vmcnt(2)
	v_fmac_f32_e32 v46, s25, v50
	v_fmac_f32_e32 v31, s6, v29
	v_fma_f32 v32, -v29, s14, v46
	v_fmac_f32_e32 v31, s11, v50
	v_fmac_f32_e32 v32, s11, v49
	v_fma_f32 v31, -v30, s14, v31
	v_fma_f32 v32, -v30, s6, v32
	global_store_dword v[8:9], v31, off
	global_store_dword v[10:11], v32, off
	global_load_dword v31, v[14:15], off
	s_nop 0
	global_load_dword v46, v[12:13], off
	v_add_u32_e32 v32, 64, v28
	v_ashrrev_i32_e32 v33, 31, v32
	v_lshlrev_b64 v[32:33], 2, v[32:33]
	v_add_co_u32_e32 v32, vcc, s8, v32
	v_addc_co_u32_e32 v33, vcc, v45, v33, vcc
	v_addc_co_u32_e64 v35, vcc, v45, v35, s[0:1]
	global_load_dword v49, v[32:33], off
	global_load_dword v50, v[34:35], off
	v_add_u32_e32 v34, 0x58, v28
	v_ashrrev_i32_e32 v35, 31, v34
	v_lshlrev_b64 v[34:35], 2, v[34:35]
	v_add_co_u32_e64 v34, s[0:1], s8, v34
	s_waitcnt vmcnt(3)
	v_fmac_f32_e32 v31, s25, v48
	s_waitcnt vmcnt(2)
	v_fma_f32 v32, -s25, v47, v46
	v_fma_f32 v31, -v29, s15, v31
	v_fmac_f32_e32 v32, s7, v29
	v_fmac_f32_e32 v31, s11, v47
	;; [unrolled: 1-line block ×3, first 2 shown]
	v_fma_f32 v31, -v30, s7, v31
	v_fma_f32 v32, -v30, s15, v32
	global_store_dword v[14:15], v31, off
	global_store_dword v[12:13], v32, off
	global_load_dword v31, v[16:17], off
	s_nop 0
	global_load_dword v46, v[18:19], off
	s_load_dwordx2 s[4:5], s[22:23], 0x10
	s_load_dwordx2 s[6:7], s[22:23], 0xd4
	v_add_u32_e32 v32, 0x50, v28
	v_ashrrev_i32_e32 v33, 31, v32
	v_lshlrev_b64 v[32:33], 2, v[32:33]
	v_add_co_u32_e32 v32, vcc, s8, v32
	v_addc_co_u32_e32 v33, vcc, v45, v33, vcc
	v_addc_co_u32_e64 v35, vcc, v45, v35, s[0:1]
	global_load_dword v47, v[32:33], off
	global_load_dword v48, v[34:35], off
	v_add_u32_e32 v34, 0x68, v28
	v_ashrrev_i32_e32 v35, 31, v34
	v_lshlrev_b64 v[34:35], 2, v[34:35]
	v_add_co_u32_e64 v34, s[0:1], s8, v34
	s_waitcnt vmcnt(3)
	v_fma_f32 v31, -s25, v49, v31
	s_waitcnt vmcnt(2)
	v_fmac_f32_e32 v46, s25, v50
	s_waitcnt lgkmcnt(0)
	v_fmac_f32_e32 v31, s4, v29
	v_fma_f32 v32, -v29, s6, v46
	v_fmac_f32_e32 v31, s11, v50
	v_fmac_f32_e32 v32, s11, v49
	v_fma_f32 v31, -v30, s6, v31
	v_fma_f32 v32, -v30, s4, v32
	global_store_dword v[16:17], v31, off
	global_store_dword v[18:19], v32, off
	global_load_dword v31, v[22:23], off
	s_nop 0
	global_load_dword v46, v[20:21], off
	v_add_u32_e32 v32, 0x60, v28
	v_ashrrev_i32_e32 v33, 31, v32
	v_lshlrev_b64 v[32:33], 2, v[32:33]
	v_add_co_u32_e32 v32, vcc, s8, v32
	v_addc_co_u32_e32 v33, vcc, v45, v33, vcc
	v_addc_co_u32_e64 v35, vcc, v45, v35, s[0:1]
	global_load_dword v28, v[32:33], off
	global_load_dword v45, v[34:35], off
	s_waitcnt vmcnt(3)
	v_fmac_f32_e32 v31, s25, v48
	s_waitcnt vmcnt(2)
	v_fma_f32 v32, -s25, v47, v46
	v_fma_f32 v31, -v29, s7, v31
	v_fmac_f32_e32 v32, s5, v29
	v_fmac_f32_e32 v31, s11, v47
	;; [unrolled: 1-line block ×3, first 2 shown]
	v_fma_f32 v31, -v30, s5, v31
	v_fma_f32 v32, -v30, s7, v32
	global_store_dword v[22:23], v31, off
	global_store_dword v[20:21], v32, off
	global_load_dword v31, v[24:25], off
	s_nop 0
	global_load_dword v32, v[26:27], off
	s_load_dword s0, s[22:23], 0x18
	s_load_dword s1, s[22:23], 0xdc
	s_waitcnt vmcnt(1)
	v_fma_f32 v31, -s25, v28, v31
	s_waitcnt vmcnt(0)
	v_fmac_f32_e32 v32, s25, v45
	s_waitcnt lgkmcnt(0)
	v_fmac_f32_e32 v31, s0, v29
	v_fma_f32 v29, -v29, s1, v32
	v_fmac_f32_e32 v31, s11, v45
	v_fmac_f32_e32 v29, s11, v28
	v_fma_f32 v28, -v30, s1, v31
	v_fma_f32 v29, -v30, s0, v29
	global_store_dword v[24:25], v28, off
	global_store_dword v[26:27], v29, off
	s_cbranch_scc0 .LBB9_2
; %bb.3:                                ;   in Loop: Header=BB9_1 Depth=1
	s_add_i32 s24, s24, 1
	s_add_u32 s16, s16, 28
	s_addc_u32 s17, s17, 0
	s_cmp_eq_u32 s24, 7
	v_add_u32_e32 v42, 0x70, v42
	s_cbranch_scc0 .LBB9_1
; %bb.4:
	s_endpgm
	.section	.rodata,"a",@progbits
	.p2align	6, 0x0
	.amdhsa_kernel _Z38comm_aosoa_naive_constants_direct_permPK15HIP_vector_typeIfLj2EEPS0_S2_
		.amdhsa_group_segment_fixed_size 0
		.amdhsa_private_segment_fixed_size 0
		.amdhsa_kernarg_size 280
		.amdhsa_user_sgpr_count 6
		.amdhsa_user_sgpr_private_segment_buffer 1
		.amdhsa_user_sgpr_dispatch_ptr 0
		.amdhsa_user_sgpr_queue_ptr 0
		.amdhsa_user_sgpr_kernarg_segment_ptr 1
		.amdhsa_user_sgpr_dispatch_id 0
		.amdhsa_user_sgpr_flat_scratch_init 0
		.amdhsa_user_sgpr_kernarg_preload_length 0
		.amdhsa_user_sgpr_kernarg_preload_offset 0
		.amdhsa_user_sgpr_private_segment_size 0
		.amdhsa_uses_dynamic_stack 0
		.amdhsa_system_sgpr_private_segment_wavefront_offset 0
		.amdhsa_system_sgpr_workgroup_id_x 1
		.amdhsa_system_sgpr_workgroup_id_y 0
		.amdhsa_system_sgpr_workgroup_id_z 0
		.amdhsa_system_sgpr_workgroup_info 0
		.amdhsa_system_vgpr_workitem_id 0
		.amdhsa_next_free_vgpr 51
		.amdhsa_next_free_sgpr 26
		.amdhsa_accum_offset 52
		.amdhsa_reserve_vcc 1
		.amdhsa_reserve_flat_scratch 0
		.amdhsa_float_round_mode_32 0
		.amdhsa_float_round_mode_16_64 0
		.amdhsa_float_denorm_mode_32 3
		.amdhsa_float_denorm_mode_16_64 3
		.amdhsa_dx10_clamp 1
		.amdhsa_ieee_mode 1
		.amdhsa_fp16_overflow 0
		.amdhsa_tg_split 0
		.amdhsa_exception_fp_ieee_invalid_op 0
		.amdhsa_exception_fp_denorm_src 0
		.amdhsa_exception_fp_ieee_div_zero 0
		.amdhsa_exception_fp_ieee_overflow 0
		.amdhsa_exception_fp_ieee_underflow 0
		.amdhsa_exception_fp_ieee_inexact 0
		.amdhsa_exception_int_div_zero 0
	.end_amdhsa_kernel
	.text
.Lfunc_end9:
	.size	_Z38comm_aosoa_naive_constants_direct_permPK15HIP_vector_typeIfLj2EEPS0_S2_, .Lfunc_end9-_Z38comm_aosoa_naive_constants_direct_permPK15HIP_vector_typeIfLj2EEPS0_S2_
                                        ; -- End function
	.section	.AMDGPU.csdata,"",@progbits
; Kernel info:
; codeLenInByte = 1924
; NumSgprs: 30
; NumVgprs: 51
; NumAgprs: 0
; TotalNumVgprs: 51
; ScratchSize: 0
; MemoryBound: 0
; FloatMode: 240
; IeeeMode: 1
; LDSByteSize: 0 bytes/workgroup (compile time only)
; SGPRBlocks: 3
; VGPRBlocks: 6
; NumSGPRsForWavesPerEU: 30
; NumVGPRsForWavesPerEU: 51
; AccumOffset: 52
; Occupancy: 8
; WaveLimiterHint : 1
; COMPUTE_PGM_RSRC2:SCRATCH_EN: 0
; COMPUTE_PGM_RSRC2:USER_SGPR: 6
; COMPUTE_PGM_RSRC2:TRAP_HANDLER: 0
; COMPUTE_PGM_RSRC2:TGID_X_EN: 1
; COMPUTE_PGM_RSRC2:TGID_Y_EN: 0
; COMPUTE_PGM_RSRC2:TGID_Z_EN: 0
; COMPUTE_PGM_RSRC2:TIDIG_COMP_CNT: 0
; COMPUTE_PGM_RSRC3_GFX90A:ACCUM_OFFSET: 12
; COMPUTE_PGM_RSRC3_GFX90A:TG_SPLIT: 0
	.text
	.protected	_Z10comm_aosoaPK15HIP_vector_typeIfLj2EEPS0_S2_i ; -- Begin function _Z10comm_aosoaPK15HIP_vector_typeIfLj2EEPS0_S2_i
	.globl	_Z10comm_aosoaPK15HIP_vector_typeIfLj2EEPS0_S2_i
	.p2align	8
	.type	_Z10comm_aosoaPK15HIP_vector_typeIfLj2EEPS0_S2_i,@function
_Z10comm_aosoaPK15HIP_vector_typeIfLj2EEPS0_S2_i: ; @_Z10comm_aosoaPK15HIP_vector_typeIfLj2EEPS0_S2_i
; %bb.0:
	s_load_dword s6, s[4:5], 0x18
	s_waitcnt lgkmcnt(0)
	s_cmp_lt_i32 s6, 1
	s_cbranch_scc1 .LBB10_7
; %bb.1:
	s_load_dwordx4 s[0:3], s[4:5], 0x0
	s_load_dwordx2 s[8:9], s[4:5], 0x10
	s_lshl_b32 s22, s6, 4
	v_bfe_u32 v1, v0, 10, 10
	s_mov_b32 s5, 0
	s_mul_i32 s4, s22, s6
	v_lshl_add_u32 v1, s7, 6, v1
	v_and_b32_e32 v3, 0x3ff, v0
	s_mul_i32 s23, s6, s6
	s_mov_b32 s7, s5
	v_mul_lo_u32 v2, v1, s4
	v_add_u32_e32 v4, 8, v3
	s_lshl_b64 s[10:11], s[6:7], 2
	v_mov_b32_e32 v1, 0
	s_waitcnt lgkmcnt(0)
	v_mov_b32_e32 v5, s1
	v_mov_b32_e32 v6, s3
	;; [unrolled: 1-line block ×3, first 2 shown]
	s_mov_b64 s[12:13], s[8:9]
	s_mov_b32 s1, s23
	s_mov_b32 s3, 0
.LBB10_2:                               ; =>This Loop Header: Depth=1
                                        ;     Child Loop BB10_3 Depth 2
                                        ;       Child Loop BB10_4 Depth 3
	s_mul_i32 s7, s3, s6
	v_mov_b32_e32 v8, v3
	s_mov_b64 s[14:15], s[8:9]
	s_mov_b32 s24, s23
	s_mov_b32 s25, s5
.LBB10_3:                               ;   Parent Loop BB10_2 Depth=1
                                        ; =>  This Loop Header: Depth=2
                                        ;       Child Loop BB10_4 Depth 3
	s_mov_b32 s26, 0
	v_mov_b32_e32 v9, 0
	v_mov_b32_e32 v11, v7
	s_mov_b64 s[16:17], s[12:13]
	v_mov_b32_e32 v12, v8
	s_mov_b64 s[18:19], s[14:15]
	s_mov_b32 s20, s24
	v_mov_b32_e32 v10, 0
.LBB10_4:                               ;   Parent Loop BB10_2 Depth=1
                                        ;     Parent Loop BB10_3 Depth=2
                                        ; =>    This Inner Loop Header: Depth=3
	v_add_u32_e32 v0, v2, v12
	v_lshlrev_b64 v[16:17], 2, v[0:1]
	v_add_u32_e32 v14, v2, v11
	v_mov_b32_e32 v15, v1
	v_add_co_u32_e32 v16, vcc, s0, v16
	v_lshlrev_b64 v[18:19], 2, v[14:15]
	v_addc_co_u32_e32 v17, vcc, v5, v17, vcc
	v_add_u32_e32 v0, 8, v0
	v_add_co_u32_e32 v18, vcc, s0, v18
	v_addc_co_u32_e32 v19, vcc, v5, v19, vcc
	v_lshlrev_b64 v[20:21], 2, v[0:1]
	v_add_u32_e32 v0, 8, v14
	v_add_co_u32_e32 v14, vcc, s0, v20
	v_addc_co_u32_e32 v15, vcc, v5, v21, vcc
	global_load_dword v13, v[16:17], off
	global_load_dword v22, v[18:19], off
	v_lshlrev_b64 v[16:17], 2, v[0:1]
	global_load_dword v0, v[14:15], off
	v_add_co_u32_e32 v14, vcc, s0, v16
	v_addc_co_u32_e32 v15, vcc, v5, v17, vcc
	global_load_dword v14, v[14:15], off
	s_add_i32 s4, s1, s26
	s_lshl_b64 s[28:29], s[4:5], 2
	s_add_u32 s28, s8, s28
	s_addc_u32 s29, s9, s29
	s_ashr_i32 s21, s20, 31
	s_load_dword s27, s[16:17], 0x0
	s_load_dword s30, s[18:19], 0x0
	;; [unrolled: 1-line block ×3, first 2 shown]
	s_lshl_b64 s[28:29], s[20:21], 2
	s_add_u32 s28, s8, s28
	s_addc_u32 s29, s9, s29
	s_load_dword s21, s[28:29], 0x0
	s_add_i32 s26, s26, 1
	s_add_i32 s20, s20, s6
	s_add_u32 s18, s18, s10
	s_addc_u32 s19, s19, s11
	s_add_u32 s16, s16, 4
	s_addc_u32 s17, s17, 0
	v_add_u32_e32 v12, s22, v12
	v_add_u32_e32 v11, 16, v11
	s_cmp_eq_u32 s6, s26
	s_waitcnt vmcnt(3) lgkmcnt(0)
	v_fma_f32 v9, -s27, v13, v9
	s_waitcnt vmcnt(2)
	v_fmac_f32_e32 v9, s30, v22
	s_waitcnt vmcnt(1)
	v_fmac_f32_e32 v10, s27, v0
	v_fmac_f32_e32 v9, s4, v0
	v_fma_f32 v0, -v22, s21, v10
	v_fmac_f32_e32 v0, s4, v13
	s_waitcnt vmcnt(0)
	v_fma_f32 v9, -v14, s21, v9
	v_fma_f32 v10, -s30, v14, v0
	s_cbranch_scc0 .LBB10_4
; %bb.5:                                ;   in Loop: Header=BB10_3 Depth=2
	s_add_i32 s4, s25, s7
	v_lshl_add_u32 v11, s4, 4, v2
	v_add_u32_e32 v0, v11, v3
	v_lshlrev_b64 v[12:13], 2, v[0:1]
	v_add_co_u32_e32 v12, vcc, s2, v12
	v_add_u32_e32 v0, v4, v11
	v_addc_co_u32_e32 v13, vcc, v6, v13, vcc
	v_lshlrev_b64 v[14:15], 2, v[0:1]
	v_add_co_u32_e32 v14, vcc, s2, v14
	v_addc_co_u32_e32 v15, vcc, v6, v15, vcc
	global_load_dword v16, v[12:13], off
	global_load_dword v0, v[14:15], off
	s_add_i32 s25, s25, 1
	s_add_i32 s24, s24, 1
	s_add_u32 s14, s14, 4
	s_addc_u32 s15, s15, 0
	s_cmp_eq_u32 s25, s6
	v_add_u32_e32 v8, 16, v8
	s_waitcnt vmcnt(1)
	v_add_f32_e32 v10, v10, v16
	s_waitcnt vmcnt(0)
	v_add_f32_e32 v0, v9, v0
	global_store_dword v[12:13], v10, off
	global_store_dword v[14:15], v0, off
	s_cbranch_scc0 .LBB10_3
; %bb.6:                                ;   in Loop: Header=BB10_2 Depth=1
	s_add_i32 s3, s3, 1
	s_add_i32 s1, s1, s6
	s_add_u32 s12, s12, s10
	s_addc_u32 s13, s13, s11
	s_cmp_eq_u32 s3, s6
	v_add_u32_e32 v7, s22, v7
	s_cbranch_scc0 .LBB10_2
.LBB10_7:
	s_endpgm
	.section	.rodata,"a",@progbits
	.p2align	6, 0x0
	.amdhsa_kernel _Z10comm_aosoaPK15HIP_vector_typeIfLj2EEPS0_S2_i
		.amdhsa_group_segment_fixed_size 0
		.amdhsa_private_segment_fixed_size 0
		.amdhsa_kernarg_size 28
		.amdhsa_user_sgpr_count 6
		.amdhsa_user_sgpr_private_segment_buffer 1
		.amdhsa_user_sgpr_dispatch_ptr 0
		.amdhsa_user_sgpr_queue_ptr 0
		.amdhsa_user_sgpr_kernarg_segment_ptr 1
		.amdhsa_user_sgpr_dispatch_id 0
		.amdhsa_user_sgpr_flat_scratch_init 0
		.amdhsa_user_sgpr_kernarg_preload_length 0
		.amdhsa_user_sgpr_kernarg_preload_offset 0
		.amdhsa_user_sgpr_private_segment_size 0
		.amdhsa_uses_dynamic_stack 0
		.amdhsa_system_sgpr_private_segment_wavefront_offset 0
		.amdhsa_system_sgpr_workgroup_id_x 1
		.amdhsa_system_sgpr_workgroup_id_y 1
		.amdhsa_system_sgpr_workgroup_id_z 0
		.amdhsa_system_sgpr_workgroup_info 0
		.amdhsa_system_vgpr_workitem_id 1
		.amdhsa_next_free_vgpr 23
		.amdhsa_next_free_sgpr 31
		.amdhsa_accum_offset 24
		.amdhsa_reserve_vcc 1
		.amdhsa_reserve_flat_scratch 0
		.amdhsa_float_round_mode_32 0
		.amdhsa_float_round_mode_16_64 0
		.amdhsa_float_denorm_mode_32 3
		.amdhsa_float_denorm_mode_16_64 3
		.amdhsa_dx10_clamp 1
		.amdhsa_ieee_mode 1
		.amdhsa_fp16_overflow 0
		.amdhsa_tg_split 0
		.amdhsa_exception_fp_ieee_invalid_op 0
		.amdhsa_exception_fp_denorm_src 0
		.amdhsa_exception_fp_ieee_div_zero 0
		.amdhsa_exception_fp_ieee_overflow 0
		.amdhsa_exception_fp_ieee_underflow 0
		.amdhsa_exception_fp_ieee_inexact 0
		.amdhsa_exception_int_div_zero 0
	.end_amdhsa_kernel
	.text
.Lfunc_end10:
	.size	_Z10comm_aosoaPK15HIP_vector_typeIfLj2EEPS0_S2_i, .Lfunc_end10-_Z10comm_aosoaPK15HIP_vector_typeIfLj2EEPS0_S2_i
                                        ; -- End function
	.section	.AMDGPU.csdata,"",@progbits
; Kernel info:
; codeLenInByte = 624
; NumSgprs: 35
; NumVgprs: 23
; NumAgprs: 0
; TotalNumVgprs: 23
; ScratchSize: 0
; MemoryBound: 0
; FloatMode: 240
; IeeeMode: 1
; LDSByteSize: 0 bytes/workgroup (compile time only)
; SGPRBlocks: 4
; VGPRBlocks: 2
; NumSGPRsForWavesPerEU: 35
; NumVGPRsForWavesPerEU: 23
; AccumOffset: 24
; Occupancy: 8
; WaveLimiterHint : 0
; COMPUTE_PGM_RSRC2:SCRATCH_EN: 0
; COMPUTE_PGM_RSRC2:USER_SGPR: 6
; COMPUTE_PGM_RSRC2:TRAP_HANDLER: 0
; COMPUTE_PGM_RSRC2:TGID_X_EN: 1
; COMPUTE_PGM_RSRC2:TGID_Y_EN: 1
; COMPUTE_PGM_RSRC2:TGID_Z_EN: 0
; COMPUTE_PGM_RSRC2:TIDIG_COMP_CNT: 1
; COMPUTE_PGM_RSRC3_GFX90A:ACCUM_OFFSET: 5
; COMPUTE_PGM_RSRC3_GFX90A:TG_SPLIT: 0
	.text
	.protected	_Z20comm_aosoa_constantsPK15HIP_vector_typeIfLj2EEPS0_S2_ ; -- Begin function _Z20comm_aosoa_constantsPK15HIP_vector_typeIfLj2EEPS0_S2_
	.globl	_Z20comm_aosoa_constantsPK15HIP_vector_typeIfLj2EEPS0_S2_
	.p2align	8
	.type	_Z20comm_aosoa_constantsPK15HIP_vector_typeIfLj2EEPS0_S2_,@function
_Z20comm_aosoa_constantsPK15HIP_vector_typeIfLj2EEPS0_S2_: ; @_Z20comm_aosoa_constantsPK15HIP_vector_typeIfLj2EEPS0_S2_
; %bb.0:
	s_load_dwordx4 s[0:3], s[4:5], 0x0
	s_load_dwordx2 s[12:13], s[4:5], 0x10
	v_bfe_u32 v1, v0, 10, 10
	v_lshl_add_u32 v2, s7, 6, v1
	v_and_b32_e32 v21, 0x3ff, v0
	s_mul_i32 s7, s7, 0xc400
	s_movk_i32 s4, 0x310
	v_or_b32_e32 v0, s7, v21
	v_mad_u32_u24 v23, v1, s4, v0
	s_waitcnt lgkmcnt(0)
	s_add_u32 s14, s12, 0x16c
	v_mul_lo_u32 v20, v2, s4
	v_add_u32_e32 v22, 8, v21
	s_addc_u32 s15, s13, 0
	s_mov_b32 s17, 0
	v_mov_b32_e32 v1, 0
	v_mov_b32_e32 v24, s1
	;; [unrolled: 1-line block ×3, first 2 shown]
	s_mov_b32 s26, 0
.LBB11_1:                               ; =>This Loop Header: Depth=1
                                        ;     Child Loop BB11_2 Depth 2
	s_mul_i32 s16, s26, 7
	s_lshl_b64 s[4:5], s[16:17], 2
	s_add_u32 s22, s12, s4
	s_mul_i32 s4, s26, 0x70
	v_add_u32_e32 v4, s4, v20
	v_add_u32_e32 v0, v4, v21
	v_lshlrev_b64 v[2:3], 2, v[0:1]
	s_addc_u32 s23, s13, s5
	v_add_co_u32_e32 v2, vcc, s0, v2
	v_add_u32_e32 v0, v22, v4
	s_lshl_b32 s4, s16, 4
	v_addc_co_u32_e32 v3, vcc, v24, v3, vcc
	v_lshlrev_b64 v[4:5], 2, v[0:1]
	v_add3_u32 v8, s4, 16, v20
	v_add_co_u32_e32 v4, vcc, s0, v4
	v_add_u32_e32 v0, v8, v21
	v_addc_co_u32_e32 v5, vcc, v24, v5, vcc
	v_lshlrev_b64 v[6:7], 2, v[0:1]
	v_add_co_u32_e32 v6, vcc, s0, v6
	v_add_u32_e32 v0, v22, v8
	v_addc_co_u32_e32 v7, vcc, v24, v7, vcc
	v_lshlrev_b64 v[8:9], 2, v[0:1]
	v_add3_u32 v12, s4, 32, v20
	v_add_co_u32_e32 v8, vcc, s0, v8
	v_add_u32_e32 v0, v12, v21
	v_addc_co_u32_e32 v9, vcc, v24, v9, vcc
	v_lshlrev_b64 v[10:11], 2, v[0:1]
	v_add_co_u32_e32 v10, vcc, s0, v10
	v_add_u32_e32 v0, v22, v12
	;; [unrolled: 9-line block ×3, first 2 shown]
	v_addc_co_u32_e32 v15, vcc, v24, v15, vcc
	v_lshlrev_b64 v[16:17], 2, v[0:1]
	v_add_co_u32_e32 v16, vcc, s0, v16
	v_addc_co_u32_e32 v17, vcc, v24, v17, vcc
	global_load_dword v26, v[2:3], off
	global_load_dword v27, v[4:5], off
	;; [unrolled: 1-line block ×8, first 2 shown]
	v_add3_u32 v4, s4, 64, v20
	v_add_u32_e32 v0, v4, v21
	v_lshlrev_b64 v[2:3], 2, v[0:1]
	v_add_co_u32_e32 v2, vcc, s0, v2
	v_add_u32_e32 v0, v22, v4
	s_add_i32 s5, s4, 0x50
	v_addc_co_u32_e32 v3, vcc, v24, v3, vcc
	v_lshlrev_b64 v[4:5], 2, v[0:1]
	v_add_u32_e32 v8, s5, v20
	v_add_co_u32_e32 v4, vcc, s0, v4
	v_add_u32_e32 v0, v8, v21
	v_addc_co_u32_e32 v5, vcc, v24, v5, vcc
	v_lshlrev_b64 v[6:7], 2, v[0:1]
	v_add_co_u32_e32 v6, vcc, s0, v6
	v_add_u32_e32 v0, v22, v8
	s_addk_i32 s4, 0x60
	v_addc_co_u32_e32 v7, vcc, v24, v7, vcc
	v_lshlrev_b64 v[8:9], 2, v[0:1]
	v_add_u32_e32 v12, s4, v20
	v_add_co_u32_e32 v8, vcc, s0, v8
	v_add_u32_e32 v0, v12, v21
	v_addc_co_u32_e32 v9, vcc, v24, v9, vcc
	v_lshlrev_b64 v[10:11], 2, v[0:1]
	v_add_co_u32_e32 v10, vcc, s0, v10
	v_add_u32_e32 v0, v22, v12
	v_addc_co_u32_e32 v11, vcc, v24, v11, vcc
	v_lshlrev_b64 v[12:13], 2, v[0:1]
	v_add_co_u32_e32 v12, vcc, s0, v12
	v_addc_co_u32_e32 v13, vcc, v24, v13, vcc
	global_load_dword v34, v[2:3], off
	global_load_dword v35, v[4:5], off
	global_load_dword v36, v[6:7], off
	global_load_dword v37, v[8:9], off
	global_load_dword v38, v[10:11], off
	global_load_dword v39, v[12:13], off
	s_load_dwordx4 s[4:7], s[22:23], 0x0
	s_load_dwordx2 s[18:19], s[22:23], 0x10
	s_load_dword s16, s[22:23], 0x18
	s_load_dwordx4 s[8:11], s[22:23], 0xc4
	s_load_dwordx2 s[20:21], s[22:23], 0xd4
	s_load_dword s27, s[22:23], 0xdc
	s_mov_b64 s[22:23], s[14:15]
	s_mov_b32 s28, 0
.LBB11_2:                               ;   Parent Loop BB11_1 Depth=1
                                        ; =>  This Inner Loop Header: Depth=2
	v_add_u32_e32 v0, s28, v23
	v_lshlrev_b64 v[48:49], 2, v[0:1]
	v_mov_b32_e32 v40, s1
	v_mov_b32_e32 v3, v1
	v_add_u32_e32 v2, 8, v0
	v_add_co_u32_e32 v48, vcc, s0, v48
	v_addc_co_u32_e32 v49, vcc, v40, v49, vcc
	v_lshlrev_b64 v[2:3], 2, v[2:3]
	v_mov_b32_e32 v5, v1
	v_add_u32_e32 v4, 0x70, v0
	v_add_co_u32_e32 v2, vcc, s0, v2
	v_lshlrev_b64 v[4:5], 2, v[4:5]
	v_addc_co_u32_e32 v3, vcc, v40, v3, vcc
	v_mov_b32_e32 v7, v1
	v_add_u32_e32 v6, 0x78, v0
	v_add_co_u32_e32 v4, vcc, s0, v4
	v_lshlrev_b64 v[6:7], 2, v[6:7]
	v_addc_co_u32_e32 v5, vcc, v40, v5, vcc
	;; [unrolled: 5-line block ×10, first 2 shown]
	v_mov_b32_e32 v47, v1
	v_add_u32_e32 v46, 0x2a0, v0
	global_load_dword v53, v[48:49], off
	v_add_co_u32_e32 v44, vcc, s0, v44
	v_lshlrev_b64 v[46:47], 2, v[46:47]
	v_addc_co_u32_e32 v45, vcc, v40, v45, vcc
	v_add_u32_e32 v0, 0x2a8, v0
	v_add_co_u32_e32 v46, vcc, s0, v46
	s_add_u32 s24, s22, 0xfffffe94
	v_lshlrev_b64 v[50:51], 2, v[0:1]
	v_addc_co_u32_e32 v47, vcc, v40, v47, vcc
	s_addc_u32 s25, s23, -1
	v_add_co_u32_e32 v48, vcc, s0, v50
	s_load_dword s29, s[22:23], 0x0
	s_load_dword s30, s[24:25], 0x0
	v_addc_co_u32_e32 v49, vcc, v40, v51, vcc
	global_load_dword v50, v[2:3], off
	global_load_dword v51, v[4:5], off
	;; [unrolled: 1-line block ×5, first 2 shown]
	s_add_u32 s24, s22, 0xffffff58
	global_load_dword v6, v[12:13], off
	s_addc_u32 s25, s23, -1
	s_load_dword s31, s[24:25], 0x0
	global_load_dword v7, v[14:15], off
	global_load_dword v8, v[16:17], off
	;; [unrolled: 1-line block ×7, first 2 shown]
	v_add_u32_e32 v0, s28, v25
	v_lshlrev_b64 v[40:41], 2, v[0:1]
	v_mov_b32_e32 v52, s3
	v_add_u32_e32 v0, 8, v0
	v_add_co_u32_e32 v2, vcc, s2, v40
	v_addc_co_u32_e32 v3, vcc, v52, v41, vcc
	v_lshlrev_b64 v[4:5], 2, v[0:1]
	v_add_co_u32_e32 v4, vcc, s2, v4
	v_addc_co_u32_e32 v5, vcc, v52, v5, vcc
	global_load_dword v0, v[2:3], off
	global_load_dword v14, v[4:5], off
	s_add_u32 s24, s22, 0xfffffeb0
	s_addc_u32 s25, s23, -1
	s_load_dword s33, s[24:25], 0x0
	s_add_u32 s24, s22, 0xffffff74
	s_addc_u32 s25, s23, -1
	s_load_dword s34, s[24:25], 0x0
	;; [unrolled: 3-line block ×11, first 2 shown]
	s_add_i32 s28, s28, 16
	s_add_u32 s22, s22, 4
	s_addc_u32 s23, s23, 0
	s_cmpk_lg_i32 s28, 0x70
	s_waitcnt vmcnt(15) lgkmcnt(0)
	v_fma_f32 v15, -s4, v53, 0
	v_fmac_f32_e32 v15, s30, v26
	s_waitcnt vmcnt(14)
	v_fma_f32 v16, s4, v50, 0
	v_fmac_f32_e32 v15, s8, v50
	v_fma_f32 v16, -v26, s31, v16
	v_fma_f32 v15, -v27, s31, v15
	v_fmac_f32_e32 v16, s8, v53
	v_fma_f32 v16, -s30, v27, v16
	s_waitcnt vmcnt(13)
	v_fma_f32 v15, -s5, v51, v15
	v_fmac_f32_e32 v15, s33, v28
	s_waitcnt vmcnt(12)
	v_fmac_f32_e32 v16, s5, v54
	v_fmac_f32_e32 v15, s9, v54
	v_fma_f32 v16, -v28, s34, v16
	v_fma_f32 v15, -v29, s34, v15
	v_fmac_f32_e32 v16, s9, v51
	v_fma_f32 v16, -s33, v29, v16
	s_waitcnt vmcnt(11)
	v_fma_f32 v15, -s6, v55, v15
	v_fmac_f32_e32 v15, s35, v30
	s_waitcnt vmcnt(10)
	v_fmac_f32_e32 v16, s6, v56
	;; [unrolled: 10-line block ×6, first 2 shown]
	v_fmac_f32_e32 v7, s27, v13
	v_fma_f32 v6, -v38, s29, v6
	v_fma_f32 v7, -v39, s29, v7
	v_fmac_f32_e32 v6, s27, v12
	v_fma_f32 v6, -s24, v39, v6
	s_waitcnt vmcnt(0)
	v_add_f32_e32 v7, v7, v14
	v_add_f32_e32 v0, v6, v0
	global_store_dword v[4:5], v7, off
	global_store_dword v[2:3], v0, off
	s_cbranch_scc1 .LBB11_2
; %bb.3:                                ;   in Loop: Header=BB11_1 Depth=1
	s_add_i32 s26, s26, 1
	s_cmp_eq_u32 s26, 7
	v_add_u32_e32 v25, 0x70, v25
	s_cbranch_scc0 .LBB11_1
; %bb.4:
	s_endpgm
	.section	.rodata,"a",@progbits
	.p2align	6, 0x0
	.amdhsa_kernel _Z20comm_aosoa_constantsPK15HIP_vector_typeIfLj2EEPS0_S2_
		.amdhsa_group_segment_fixed_size 0
		.amdhsa_private_segment_fixed_size 0
		.amdhsa_kernarg_size 24
		.amdhsa_user_sgpr_count 6
		.amdhsa_user_sgpr_private_segment_buffer 1
		.amdhsa_user_sgpr_dispatch_ptr 0
		.amdhsa_user_sgpr_queue_ptr 0
		.amdhsa_user_sgpr_kernarg_segment_ptr 1
		.amdhsa_user_sgpr_dispatch_id 0
		.amdhsa_user_sgpr_flat_scratch_init 0
		.amdhsa_user_sgpr_kernarg_preload_length 0
		.amdhsa_user_sgpr_kernarg_preload_offset 0
		.amdhsa_user_sgpr_private_segment_size 0
		.amdhsa_uses_dynamic_stack 0
		.amdhsa_system_sgpr_private_segment_wavefront_offset 0
		.amdhsa_system_sgpr_workgroup_id_x 1
		.amdhsa_system_sgpr_workgroup_id_y 1
		.amdhsa_system_sgpr_workgroup_id_z 0
		.amdhsa_system_sgpr_workgroup_info 0
		.amdhsa_system_vgpr_workitem_id 1
		.amdhsa_next_free_vgpr 57
		.amdhsa_next_free_sgpr 43
		.amdhsa_accum_offset 60
		.amdhsa_reserve_vcc 1
		.amdhsa_reserve_flat_scratch 0
		.amdhsa_float_round_mode_32 0
		.amdhsa_float_round_mode_16_64 0
		.amdhsa_float_denorm_mode_32 3
		.amdhsa_float_denorm_mode_16_64 3
		.amdhsa_dx10_clamp 1
		.amdhsa_ieee_mode 1
		.amdhsa_fp16_overflow 0
		.amdhsa_tg_split 0
		.amdhsa_exception_fp_ieee_invalid_op 0
		.amdhsa_exception_fp_denorm_src 0
		.amdhsa_exception_fp_ieee_div_zero 0
		.amdhsa_exception_fp_ieee_overflow 0
		.amdhsa_exception_fp_ieee_underflow 0
		.amdhsa_exception_fp_ieee_inexact 0
		.amdhsa_exception_int_div_zero 0
	.end_amdhsa_kernel
	.text
.Lfunc_end11:
	.size	_Z20comm_aosoa_constantsPK15HIP_vector_typeIfLj2EEPS0_S2_, .Lfunc_end11-_Z20comm_aosoa_constantsPK15HIP_vector_typeIfLj2EEPS0_S2_
                                        ; -- End function
	.section	.AMDGPU.csdata,"",@progbits
; Kernel info:
; codeLenInByte = 1932
; NumSgprs: 47
; NumVgprs: 57
; NumAgprs: 0
; TotalNumVgprs: 57
; ScratchSize: 0
; MemoryBound: 0
; FloatMode: 240
; IeeeMode: 1
; LDSByteSize: 0 bytes/workgroup (compile time only)
; SGPRBlocks: 5
; VGPRBlocks: 7
; NumSGPRsForWavesPerEU: 47
; NumVGPRsForWavesPerEU: 57
; AccumOffset: 60
; Occupancy: 8
; WaveLimiterHint : 0
; COMPUTE_PGM_RSRC2:SCRATCH_EN: 0
; COMPUTE_PGM_RSRC2:USER_SGPR: 6
; COMPUTE_PGM_RSRC2:TRAP_HANDLER: 0
; COMPUTE_PGM_RSRC2:TGID_X_EN: 1
; COMPUTE_PGM_RSRC2:TGID_Y_EN: 1
; COMPUTE_PGM_RSRC2:TGID_Z_EN: 0
; COMPUTE_PGM_RSRC2:TIDIG_COMP_CNT: 1
; COMPUTE_PGM_RSRC3_GFX90A:ACCUM_OFFSET: 14
; COMPUTE_PGM_RSRC3_GFX90A:TG_SPLIT: 0
	.text
	.protected	_Z25comm_aosoa_constants_permPK15HIP_vector_typeIfLj2EEPS0_S2_ ; -- Begin function _Z25comm_aosoa_constants_permPK15HIP_vector_typeIfLj2EEPS0_S2_
	.globl	_Z25comm_aosoa_constants_permPK15HIP_vector_typeIfLj2EEPS0_S2_
	.p2align	8
	.type	_Z25comm_aosoa_constants_permPK15HIP_vector_typeIfLj2EEPS0_S2_,@function
_Z25comm_aosoa_constants_permPK15HIP_vector_typeIfLj2EEPS0_S2_: ; @_Z25comm_aosoa_constants_permPK15HIP_vector_typeIfLj2EEPS0_S2_
; %bb.0:
	s_load_dwordx4 s[8:11], s[4:5], 0x0
	s_load_dwordx2 s[2:3], s[4:5], 0x10
	v_bfe_u32 v1, v0, 10, 10
	v_lshl_add_u32 v2, s7, 6, v1
	v_and_b32_e32 v33, 0x3ff, v0
	s_mul_i32 s7, s7, 0xc400
	s_movk_i32 s0, 0x310
	v_or_b32_e32 v36, s7, v33
	v_mul_lo_u32 v32, v2, s0
	v_add_u32_e32 v34, 8, v33
	v_mul_u32_u24_e32 v35, 0x310, v1
	s_mov_b32 s24, 0
	s_mov_b64 s[16:17], 0xc4
	v_mov_b32_e32 v1, 0
	s_waitcnt lgkmcnt(0)
	v_mov_b32_e32 v37, s11
	v_mov_b32_e32 v38, v36
.LBB12_1:                               ; =>This Loop Header: Depth=1
                                        ;     Child Loop BB12_2 Depth 2
	s_mul_i32 s0, s24, 0x70
	v_add_u32_e32 v26, s0, v32
	v_add_u32_e32 v0, v26, v33
	v_lshlrev_b64 v[2:3], 2, v[0:1]
	v_add_co_u32_e32 v2, vcc, s10, v2
	v_add_u32_e32 v0, v34, v26
	v_addc_co_u32_e32 v3, vcc, v37, v3, vcc
	v_lshlrev_b64 v[4:5], 2, v[0:1]
	v_add_u32_e32 v8, 16, v26
	v_add_co_u32_e32 v4, vcc, s10, v4
	v_add_u32_e32 v0, v8, v33
	v_addc_co_u32_e32 v5, vcc, v37, v5, vcc
	v_lshlrev_b64 v[6:7], 2, v[0:1]
	v_add_co_u32_e32 v6, vcc, s10, v6
	v_add_u32_e32 v0, v34, v8
	v_addc_co_u32_e32 v7, vcc, v37, v7, vcc
	v_lshlrev_b64 v[8:9], 2, v[0:1]
	v_add_u32_e32 v12, 32, v26
	v_add_co_u32_e32 v8, vcc, s10, v8
	v_add_u32_e32 v0, v12, v33
	v_addc_co_u32_e32 v9, vcc, v37, v9, vcc
	;; [unrolled: 9-line block ×6, first 2 shown]
	v_lshlrev_b64 v[26:27], 2, v[0:1]
	v_add_co_u32_e32 v26, vcc, s10, v26
	v_add_u32_e32 v0, v34, v28
	v_addc_co_u32_e32 v27, vcc, v37, v27, vcc
	v_lshlrev_b64 v[28:29], 2, v[0:1]
	v_add_co_u32_e32 v28, vcc, s10, v28
	v_addc_co_u32_e32 v29, vcc, v37, v29, vcc
	s_mov_b64 s[18:19], 0
	v_mov_b32_e32 v39, v38
	v_mov_b32_e32 v40, v36
	s_mov_b64 s[20:21], s[16:17]
.LBB12_2:                               ;   Parent Loop BB12_1 Depth=1
                                        ; =>  This Inner Loop Header: Depth=2
	v_add_u32_e32 v0, v35, v39
	v_lshlrev_b64 v[42:43], 2, v[0:1]
	v_mov_b32_e32 v41, s9
	v_add_u32_e32 v0, 8, v0
	v_add_co_u32_e32 v42, vcc, s8, v42
	v_lshlrev_b64 v[44:45], 2, v[0:1]
	v_addc_co_u32_e32 v43, vcc, v41, v43, vcc
	v_add_u32_e32 v0, v35, v40
	v_add_co_u32_e32 v44, vcc, s8, v44
	v_lshlrev_b64 v[46:47], 2, v[0:1]
	v_addc_co_u32_e32 v45, vcc, v41, v45, vcc
	v_mov_b32_e32 v31, v1
	v_add_u32_e32 v30, 8, v0
	v_add_co_u32_e32 v46, vcc, s8, v46
	v_lshlrev_b64 v[30:31], 2, v[30:31]
	v_addc_co_u32_e32 v47, vcc, v41, v47, vcc
	global_load_dword v50, v[2:3], off
	global_load_dword v51, v[4:5], off
	v_add_co_u32_e32 v48, vcc, s8, v30
	global_load_dword v42, v[42:43], off
	v_addc_co_u32_e32 v49, vcc, v41, v31, vcc
	global_load_dword v43, v[46:47], off
	global_load_dword v31, v[48:49], off
	;; [unrolled: 1-line block ×3, first 2 shown]
	s_add_u32 s0, s2, s20
	s_addc_u32 s1, s3, s21
	s_add_u32 s4, s0, 0xffffff3c
	s_addc_u32 s5, s1, -1
	s_load_dword s11, s[0:1], 0x0
	s_load_dword s25, s[4:5], 0x0
	s_add_u32 s22, s2, s18
	v_mov_b32_e32 v45, v1
	v_add_u32_e32 v44, 16, v0
	s_addc_u32 s23, s3, s19
	v_mov_b32_e32 v47, v1
	v_add_u32_e32 v46, 24, v0
	v_lshlrev_b64 v[44:45], 2, v[44:45]
	s_load_dwordx4 s[4:7], s[22:23], 0x0
	s_load_dwordx4 s[12:15], s[22:23], 0xc4
	v_lshlrev_b64 v[46:47], 2, v[46:47]
	v_add_co_u32_e32 v44, vcc, s8, v44
	v_add_co_u32_e64 v46, s[0:1], s8, v46
	v_addc_co_u32_e32 v45, vcc, v41, v45, vcc
	v_addc_co_u32_e64 v47, vcc, v41, v47, s[0:1]
	global_load_dword v48, v[44:45], off
	global_load_dword v49, v[46:47], off
	v_mov_b32_e32 v45, v1
	v_mov_b32_e32 v47, v1
	v_add_u32_e32 v46, 40, v0
	v_lshlrev_b64 v[46:47], 2, v[46:47]
	v_add_co_u32_e64 v46, s[0:1], s8, v46
	s_add_u32 s20, s20, 4
	s_addc_u32 s21, s21, 0
	s_add_u32 s18, s18, 28
	s_addc_u32 s19, s19, 0
	v_add_u32_e32 v39, 16, v39
	v_add_u32_e32 v40, 0x70, v40
	s_cmpk_eq_i32 s18, 0xc4
	s_waitcnt vmcnt(4) lgkmcnt(0)
	v_fma_f32 v44, -s25, v43, v51
	v_fmac_f32_e32 v44, s4, v42
	s_waitcnt vmcnt(3)
	v_fmac_f32_e32 v50, s25, v31
	v_fmac_f32_e32 v44, s11, v31
	v_fma_f32 v31, -v42, s12, v50
	s_waitcnt vmcnt(2)
	v_fma_f32 v44, -v30, s12, v44
	v_fmac_f32_e32 v31, s11, v43
	v_fma_f32 v31, -v30, s4, v31
	global_store_dword v[4:5], v44, off
	global_store_dword v[2:3], v31, off
	global_load_dword v31, v[6:7], off
	s_nop 0
	global_load_dword v43, v[8:9], off
	v_add_u32_e32 v44, 32, v0
	v_lshlrev_b64 v[44:45], 2, v[44:45]
	v_add_co_u32_e32 v44, vcc, s8, v44
	v_addc_co_u32_e32 v45, vcc, v41, v45, vcc
	v_addc_co_u32_e64 v47, vcc, v41, v47, s[0:1]
	global_load_dword v50, v[44:45], off
	global_load_dword v51, v[46:47], off
	v_mov_b32_e32 v45, v1
	v_add_u32_e32 v44, 48, v0
	v_mov_b32_e32 v47, v1
	v_add_u32_e32 v46, 56, v0
	v_lshlrev_b64 v[44:45], 2, v[44:45]
	v_lshlrev_b64 v[46:47], 2, v[46:47]
	v_add_co_u32_e32 v44, vcc, s8, v44
	v_add_co_u32_e64 v46, s[0:1], s8, v46
	v_addc_co_u32_e32 v45, vcc, v41, v45, vcc
	v_addc_co_u32_e64 v47, vcc, v41, v47, s[0:1]
	s_waitcnt vmcnt(3)
	v_fmac_f32_e32 v31, s25, v49
	s_waitcnt vmcnt(2)
	v_fma_f32 v43, -s25, v48, v43
	v_fma_f32 v31, -v42, s13, v31
	v_fmac_f32_e32 v43, s5, v42
	v_fmac_f32_e32 v31, s11, v48
	;; [unrolled: 1-line block ×3, first 2 shown]
	v_fma_f32 v31, -v30, s5, v31
	v_fma_f32 v43, -v30, s13, v43
	global_store_dword v[6:7], v31, off
	global_store_dword v[8:9], v43, off
	global_load_dword v31, v[12:13], off
	s_nop 0
	global_load_dword v43, v[10:11], off
	global_load_dword v48, v[44:45], off
	;; [unrolled: 1-line block ×3, first 2 shown]
	v_mov_b32_e32 v45, v1
	v_add_u32_e32 v44, 64, v0
	v_mov_b32_e32 v47, v1
	v_add_u32_e32 v46, 0x48, v0
	v_lshlrev_b64 v[44:45], 2, v[44:45]
	v_lshlrev_b64 v[46:47], 2, v[46:47]
	v_add_co_u32_e32 v44, vcc, s8, v44
	v_add_co_u32_e64 v46, s[0:1], s8, v46
	v_addc_co_u32_e32 v45, vcc, v41, v45, vcc
	v_addc_co_u32_e64 v47, vcc, v41, v47, s[0:1]
	s_waitcnt vmcnt(3)
	v_fma_f32 v31, -s25, v50, v31
	s_waitcnt vmcnt(2)
	v_fmac_f32_e32 v43, s25, v51
	v_fmac_f32_e32 v31, s6, v42
	v_fma_f32 v43, -v42, s14, v43
	v_fmac_f32_e32 v31, s11, v51
	v_fmac_f32_e32 v43, s11, v50
	v_fma_f32 v31, -v30, s14, v31
	v_fma_f32 v43, -v30, s6, v43
	global_store_dword v[12:13], v31, off
	global_store_dword v[10:11], v43, off
	global_load_dword v31, v[14:15], off
	s_nop 0
	global_load_dword v43, v[16:17], off
	global_load_dword v50, v[44:45], off
	;; [unrolled: 1-line block ×3, first 2 shown]
	v_mov_b32_e32 v45, v1
	v_add_u32_e32 v44, 0x50, v0
	v_mov_b32_e32 v47, v1
	v_add_u32_e32 v46, 0x58, v0
	v_lshlrev_b64 v[44:45], 2, v[44:45]
	v_lshlrev_b64 v[46:47], 2, v[46:47]
	v_add_co_u32_e32 v44, vcc, s8, v44
	v_add_co_u32_e64 v46, s[0:1], s8, v46
	v_addc_co_u32_e32 v45, vcc, v41, v45, vcc
	v_addc_co_u32_e64 v47, vcc, v41, v47, s[0:1]
	s_waitcnt vmcnt(3)
	v_fmac_f32_e32 v31, s25, v49
	s_waitcnt vmcnt(2)
	v_fma_f32 v43, -s25, v48, v43
	v_fma_f32 v31, -v42, s15, v31
	v_fmac_f32_e32 v43, s7, v42
	v_fmac_f32_e32 v31, s11, v48
	;; [unrolled: 1-line block ×3, first 2 shown]
	v_fma_f32 v31, -v30, s7, v31
	v_fma_f32 v43, -v30, s15, v43
	global_store_dword v[14:15], v31, off
	global_store_dword v[16:17], v43, off
	global_load_dword v31, v[20:21], off
	s_nop 0
	global_load_dword v43, v[18:19], off
	s_load_dwordx2 s[4:5], s[22:23], 0x10
	s_load_dwordx2 s[6:7], s[22:23], 0xd4
	global_load_dword v48, v[44:45], off
	global_load_dword v49, v[46:47], off
	v_mov_b32_e32 v45, v1
	v_add_u32_e32 v44, 0x60, v0
	v_add_u32_e32 v0, 0x68, v0
	v_lshlrev_b64 v[44:45], 2, v[44:45]
	v_lshlrev_b64 v[46:47], 2, v[0:1]
	v_add_co_u32_e32 v44, vcc, s8, v44
	v_add_co_u32_e64 v46, s[0:1], s8, v46
	v_addc_co_u32_e32 v45, vcc, v41, v45, vcc
	v_addc_co_u32_e64 v47, vcc, v41, v47, s[0:1]
	s_waitcnt vmcnt(3)
	v_fma_f32 v31, -s25, v50, v31
	s_waitcnt vmcnt(2)
	v_fmac_f32_e32 v43, s25, v51
	s_waitcnt lgkmcnt(0)
	v_fmac_f32_e32 v31, s4, v42
	v_fma_f32 v43, -v42, s6, v43
	v_fmac_f32_e32 v31, s11, v51
	v_fmac_f32_e32 v43, s11, v50
	v_fma_f32 v31, -v30, s6, v31
	v_fma_f32 v43, -v30, s4, v43
	global_store_dword v[20:21], v31, off
	global_store_dword v[18:19], v43, off
	global_load_dword v31, v[22:23], off
	s_nop 0
	global_load_dword v43, v[24:25], off
	global_load_dword v0, v[44:45], off
	;; [unrolled: 1-line block ×3, first 2 shown]
	s_waitcnt vmcnt(3)
	v_fmac_f32_e32 v31, s25, v49
	s_waitcnt vmcnt(2)
	v_fma_f32 v43, -s25, v48, v43
	v_fma_f32 v31, -v42, s7, v31
	v_fmac_f32_e32 v43, s5, v42
	v_fmac_f32_e32 v31, s11, v48
	;; [unrolled: 1-line block ×3, first 2 shown]
	v_fma_f32 v31, -v30, s5, v31
	v_fma_f32 v43, -v30, s7, v43
	global_store_dword v[22:23], v31, off
	global_store_dword v[24:25], v43, off
	global_load_dword v31, v[28:29], off
	s_nop 0
	global_load_dword v43, v[26:27], off
	s_load_dword s0, s[22:23], 0x18
	s_load_dword s1, s[22:23], 0xdc
	s_waitcnt vmcnt(1)
	v_fma_f32 v31, -s25, v0, v31
	s_waitcnt vmcnt(0)
	v_fmac_f32_e32 v43, s25, v41
	s_waitcnt lgkmcnt(0)
	v_fmac_f32_e32 v31, s0, v42
	v_fma_f32 v42, -v42, s1, v43
	v_fmac_f32_e32 v31, s11, v41
	v_fmac_f32_e32 v42, s11, v0
	v_fma_f32 v0, -v30, s1, v31
	v_fma_f32 v30, -v30, s0, v42
	global_store_dword v[28:29], v0, off
	global_store_dword v[26:27], v30, off
	s_cbranch_scc0 .LBB12_2
; %bb.3:                                ;   in Loop: Header=BB12_1 Depth=1
	s_add_i32 s24, s24, 1
	s_add_u32 s16, s16, 28
	s_addc_u32 s17, s17, 0
	s_cmp_eq_u32 s24, 7
	v_add_u32_e32 v38, 0x70, v38
	s_cbranch_scc0 .LBB12_1
; %bb.4:
	s_endpgm
	.section	.rodata,"a",@progbits
	.p2align	6, 0x0
	.amdhsa_kernel _Z25comm_aosoa_constants_permPK15HIP_vector_typeIfLj2EEPS0_S2_
		.amdhsa_group_segment_fixed_size 0
		.amdhsa_private_segment_fixed_size 0
		.amdhsa_kernarg_size 24
		.amdhsa_user_sgpr_count 6
		.amdhsa_user_sgpr_private_segment_buffer 1
		.amdhsa_user_sgpr_dispatch_ptr 0
		.amdhsa_user_sgpr_queue_ptr 0
		.amdhsa_user_sgpr_kernarg_segment_ptr 1
		.amdhsa_user_sgpr_dispatch_id 0
		.amdhsa_user_sgpr_flat_scratch_init 0
		.amdhsa_user_sgpr_kernarg_preload_length 0
		.amdhsa_user_sgpr_kernarg_preload_offset 0
		.amdhsa_user_sgpr_private_segment_size 0
		.amdhsa_uses_dynamic_stack 0
		.amdhsa_system_sgpr_private_segment_wavefront_offset 0
		.amdhsa_system_sgpr_workgroup_id_x 1
		.amdhsa_system_sgpr_workgroup_id_y 1
		.amdhsa_system_sgpr_workgroup_id_z 0
		.amdhsa_system_sgpr_workgroup_info 0
		.amdhsa_system_vgpr_workitem_id 1
		.amdhsa_next_free_vgpr 52
		.amdhsa_next_free_sgpr 26
		.amdhsa_accum_offset 52
		.amdhsa_reserve_vcc 1
		.amdhsa_reserve_flat_scratch 0
		.amdhsa_float_round_mode_32 0
		.amdhsa_float_round_mode_16_64 0
		.amdhsa_float_denorm_mode_32 3
		.amdhsa_float_denorm_mode_16_64 3
		.amdhsa_dx10_clamp 1
		.amdhsa_ieee_mode 1
		.amdhsa_fp16_overflow 0
		.amdhsa_tg_split 0
		.amdhsa_exception_fp_ieee_invalid_op 0
		.amdhsa_exception_fp_denorm_src 0
		.amdhsa_exception_fp_ieee_div_zero 0
		.amdhsa_exception_fp_ieee_overflow 0
		.amdhsa_exception_fp_ieee_underflow 0
		.amdhsa_exception_fp_ieee_inexact 0
		.amdhsa_exception_int_div_zero 0
	.end_amdhsa_kernel
	.text
.Lfunc_end12:
	.size	_Z25comm_aosoa_constants_permPK15HIP_vector_typeIfLj2EEPS0_S2_, .Lfunc_end12-_Z25comm_aosoa_constants_permPK15HIP_vector_typeIfLj2EEPS0_S2_
                                        ; -- End function
	.section	.AMDGPU.csdata,"",@progbits
; Kernel info:
; codeLenInByte = 1824
; NumSgprs: 30
; NumVgprs: 52
; NumAgprs: 0
; TotalNumVgprs: 52
; ScratchSize: 0
; MemoryBound: 0
; FloatMode: 240
; IeeeMode: 1
; LDSByteSize: 0 bytes/workgroup (compile time only)
; SGPRBlocks: 3
; VGPRBlocks: 6
; NumSGPRsForWavesPerEU: 30
; NumVGPRsForWavesPerEU: 52
; AccumOffset: 52
; Occupancy: 8
; WaveLimiterHint : 1
; COMPUTE_PGM_RSRC2:SCRATCH_EN: 0
; COMPUTE_PGM_RSRC2:USER_SGPR: 6
; COMPUTE_PGM_RSRC2:TRAP_HANDLER: 0
; COMPUTE_PGM_RSRC2:TGID_X_EN: 1
; COMPUTE_PGM_RSRC2:TGID_Y_EN: 1
; COMPUTE_PGM_RSRC2:TGID_Z_EN: 0
; COMPUTE_PGM_RSRC2:TIDIG_COMP_CNT: 1
; COMPUTE_PGM_RSRC3_GFX90A:ACCUM_OFFSET: 12
; COMPUTE_PGM_RSRC3_GFX90A:TG_SPLIT: 0
	.text
	.protected	_Z17comm_aosoa_directPK15HIP_vector_typeIfLj2EEPS0_S2_i ; -- Begin function _Z17comm_aosoa_directPK15HIP_vector_typeIfLj2EEPS0_S2_i
	.globl	_Z17comm_aosoa_directPK15HIP_vector_typeIfLj2EEPS0_S2_i
	.p2align	8
	.type	_Z17comm_aosoa_directPK15HIP_vector_typeIfLj2EEPS0_S2_i,@function
_Z17comm_aosoa_directPK15HIP_vector_typeIfLj2EEPS0_S2_i: ; @_Z17comm_aosoa_directPK15HIP_vector_typeIfLj2EEPS0_S2_i
; %bb.0:
	s_load_dword s6, s[4:5], 0x18
	s_waitcnt lgkmcnt(0)
	s_cmp_lt_i32 s6, 1
	s_cbranch_scc1 .LBB13_7
; %bb.1:
	s_load_dwordx4 s[0:3], s[4:5], 0x0
	s_load_dwordx2 s[8:9], s[4:5], 0x10
	s_lshl_b32 s22, s6, 4
	v_bfe_u32 v1, v0, 10, 10
	s_mov_b32 s5, 0
	s_mul_i32 s4, s22, s6
	v_lshl_add_u32 v1, s7, 6, v1
	v_and_b32_e32 v7, 0x3ff, v0
	s_mul_i32 s23, s6, s6
	s_mov_b32 s7, s5
	v_mul_lo_u32 v6, v1, s4
	v_add_u32_e32 v8, 8, v7
	s_lshl_b64 s[10:11], s[6:7], 2
	v_mov_b32_e32 v1, 0
	s_waitcnt lgkmcnt(0)
	v_mov_b32_e32 v9, s3
	v_mov_b32_e32 v10, s1
	;; [unrolled: 1-line block ×3, first 2 shown]
	s_mov_b64 s[12:13], s[8:9]
	s_mov_b32 s1, s23
	s_mov_b32 s3, 0
.LBB13_2:                               ; =>This Loop Header: Depth=1
                                        ;     Child Loop BB13_3 Depth 2
                                        ;       Child Loop BB13_4 Depth 3
	s_mul_i32 s7, s3, s6
	v_mov_b32_e32 v12, v7
	s_mov_b64 s[14:15], s[8:9]
	s_mov_b32 s24, s23
	s_mov_b32 s25, s5
.LBB13_3:                               ;   Parent Loop BB13_2 Depth=1
                                        ; =>  This Loop Header: Depth=2
                                        ;       Child Loop BB13_4 Depth 3
	s_add_i32 s4, s25, s7
	v_lshl_add_u32 v4, s4, 4, v6
	v_add_u32_e32 v0, v8, v4
	v_lshlrev_b64 v[2:3], 2, v[0:1]
	v_add_co_u32_e32 v2, vcc, s2, v2
	v_add_u32_e32 v0, v4, v7
	v_addc_co_u32_e32 v3, vcc, v9, v3, vcc
	v_lshlrev_b64 v[4:5], 2, v[0:1]
	v_add_co_u32_e32 v4, vcc, s2, v4
	v_addc_co_u32_e32 v5, vcc, v9, v5, vcc
	global_load_dword v15, v[2:3], off
	global_load_dword v13, v[4:5], off
	s_mov_b32 s26, 0
	v_mov_b32_e32 v14, v11
	s_mov_b64 s[16:17], s[12:13]
	v_mov_b32_e32 v16, v12
	s_mov_b64 s[18:19], s[14:15]
	s_mov_b32 s20, s24
.LBB13_4:                               ;   Parent Loop BB13_2 Depth=1
                                        ;     Parent Loop BB13_3 Depth=2
                                        ; =>    This Inner Loop Header: Depth=3
	v_add_u32_e32 v0, v6, v16
	v_lshlrev_b64 v[20:21], 2, v[0:1]
	v_add_u32_e32 v18, v6, v14
	v_mov_b32_e32 v19, v1
	v_add_co_u32_e32 v20, vcc, s0, v20
	v_lshlrev_b64 v[22:23], 2, v[18:19]
	v_addc_co_u32_e32 v21, vcc, v10, v21, vcc
	v_add_u32_e32 v0, 8, v0
	v_add_co_u32_e32 v22, vcc, s0, v22
	v_addc_co_u32_e32 v23, vcc, v10, v23, vcc
	v_lshlrev_b64 v[24:25], 2, v[0:1]
	v_add_u32_e32 v0, 8, v18
	v_add_co_u32_e32 v18, vcc, s0, v24
	v_addc_co_u32_e32 v19, vcc, v10, v25, vcc
	global_load_dword v17, v[20:21], off
	global_load_dword v26, v[22:23], off
	v_lshlrev_b64 v[20:21], 2, v[0:1]
	global_load_dword v0, v[18:19], off
	v_add_co_u32_e32 v18, vcc, s0, v20
	v_addc_co_u32_e32 v19, vcc, v10, v21, vcc
	global_load_dword v18, v[18:19], off
	s_add_i32 s4, s1, s26
	s_lshl_b64 s[28:29], s[4:5], 2
	s_add_u32 s28, s8, s28
	s_addc_u32 s29, s9, s29
	s_ashr_i32 s21, s20, 31
	s_load_dword s27, s[16:17], 0x0
	s_load_dword s30, s[18:19], 0x0
	;; [unrolled: 1-line block ×3, first 2 shown]
	s_lshl_b64 s[28:29], s[20:21], 2
	s_add_u32 s28, s8, s28
	s_addc_u32 s29, s9, s29
	s_load_dword s21, s[28:29], 0x0
	s_add_i32 s26, s26, 1
	s_add_i32 s20, s20, s6
	s_add_u32 s18, s18, s10
	s_addc_u32 s19, s19, s11
	s_add_u32 s16, s16, 4
	s_addc_u32 s17, s17, 0
	v_add_u32_e32 v16, s22, v16
	v_add_u32_e32 v14, 16, v14
	s_cmp_eq_u32 s6, s26
	s_waitcnt vmcnt(3) lgkmcnt(0)
	v_fma_f32 v15, -s27, v17, v15
	s_waitcnt vmcnt(2)
	v_fmac_f32_e32 v15, s30, v26
	s_waitcnt vmcnt(1)
	v_fmac_f32_e32 v13, s27, v0
	v_fmac_f32_e32 v15, s4, v0
	v_fma_f32 v0, -v26, s21, v13
	v_fmac_f32_e32 v0, s4, v17
	s_waitcnt vmcnt(0)
	v_fma_f32 v15, -v18, s21, v15
	v_fma_f32 v13, -s30, v18, v0
	s_cbranch_scc0 .LBB13_4
; %bb.5:                                ;   in Loop: Header=BB13_3 Depth=2
	s_add_i32 s25, s25, 1
	s_add_i32 s24, s24, 1
	s_add_u32 s14, s14, 4
	s_addc_u32 s15, s15, 0
	s_cmp_eq_u32 s25, s6
	v_add_u32_e32 v12, 16, v12
	global_store_dword v[2:3], v15, off
	global_store_dword v[4:5], v13, off
	s_cbranch_scc0 .LBB13_3
; %bb.6:                                ;   in Loop: Header=BB13_2 Depth=1
	s_add_i32 s3, s3, 1
	s_add_i32 s1, s1, s6
	s_add_u32 s12, s12, s10
	s_addc_u32 s13, s13, s11
	s_cmp_eq_u32 s3, s6
	v_add_u32_e32 v11, s22, v11
	s_cbranch_scc0 .LBB13_2
.LBB13_7:
	s_endpgm
	.section	.rodata,"a",@progbits
	.p2align	6, 0x0
	.amdhsa_kernel _Z17comm_aosoa_directPK15HIP_vector_typeIfLj2EEPS0_S2_i
		.amdhsa_group_segment_fixed_size 0
		.amdhsa_private_segment_fixed_size 0
		.amdhsa_kernarg_size 28
		.amdhsa_user_sgpr_count 6
		.amdhsa_user_sgpr_private_segment_buffer 1
		.amdhsa_user_sgpr_dispatch_ptr 0
		.amdhsa_user_sgpr_queue_ptr 0
		.amdhsa_user_sgpr_kernarg_segment_ptr 1
		.amdhsa_user_sgpr_dispatch_id 0
		.amdhsa_user_sgpr_flat_scratch_init 0
		.amdhsa_user_sgpr_kernarg_preload_length 0
		.amdhsa_user_sgpr_kernarg_preload_offset 0
		.amdhsa_user_sgpr_private_segment_size 0
		.amdhsa_uses_dynamic_stack 0
		.amdhsa_system_sgpr_private_segment_wavefront_offset 0
		.amdhsa_system_sgpr_workgroup_id_x 1
		.amdhsa_system_sgpr_workgroup_id_y 1
		.amdhsa_system_sgpr_workgroup_id_z 0
		.amdhsa_system_sgpr_workgroup_info 0
		.amdhsa_system_vgpr_workitem_id 1
		.amdhsa_next_free_vgpr 27
		.amdhsa_next_free_sgpr 31
		.amdhsa_accum_offset 28
		.amdhsa_reserve_vcc 1
		.amdhsa_reserve_flat_scratch 0
		.amdhsa_float_round_mode_32 0
		.amdhsa_float_round_mode_16_64 0
		.amdhsa_float_denorm_mode_32 3
		.amdhsa_float_denorm_mode_16_64 3
		.amdhsa_dx10_clamp 1
		.amdhsa_ieee_mode 1
		.amdhsa_fp16_overflow 0
		.amdhsa_tg_split 0
		.amdhsa_exception_fp_ieee_invalid_op 0
		.amdhsa_exception_fp_denorm_src 0
		.amdhsa_exception_fp_ieee_div_zero 0
		.amdhsa_exception_fp_ieee_overflow 0
		.amdhsa_exception_fp_ieee_underflow 0
		.amdhsa_exception_fp_ieee_inexact 0
		.amdhsa_exception_int_div_zero 0
	.end_amdhsa_kernel
	.text
.Lfunc_end13:
	.size	_Z17comm_aosoa_directPK15HIP_vector_typeIfLj2EEPS0_S2_i, .Lfunc_end13-_Z17comm_aosoa_directPK15HIP_vector_typeIfLj2EEPS0_S2_i
                                        ; -- End function
	.section	.AMDGPU.csdata,"",@progbits
; Kernel info:
; codeLenInByte = 600
; NumSgprs: 35
; NumVgprs: 27
; NumAgprs: 0
; TotalNumVgprs: 27
; ScratchSize: 0
; MemoryBound: 0
; FloatMode: 240
; IeeeMode: 1
; LDSByteSize: 0 bytes/workgroup (compile time only)
; SGPRBlocks: 4
; VGPRBlocks: 3
; NumSGPRsForWavesPerEU: 35
; NumVGPRsForWavesPerEU: 27
; AccumOffset: 28
; Occupancy: 8
; WaveLimiterHint : 0
; COMPUTE_PGM_RSRC2:SCRATCH_EN: 0
; COMPUTE_PGM_RSRC2:USER_SGPR: 6
; COMPUTE_PGM_RSRC2:TRAP_HANDLER: 0
; COMPUTE_PGM_RSRC2:TGID_X_EN: 1
; COMPUTE_PGM_RSRC2:TGID_Y_EN: 1
; COMPUTE_PGM_RSRC2:TGID_Z_EN: 0
; COMPUTE_PGM_RSRC2:TIDIG_COMP_CNT: 1
; COMPUTE_PGM_RSRC3_GFX90A:ACCUM_OFFSET: 6
; COMPUTE_PGM_RSRC3_GFX90A:TG_SPLIT: 0
	.text
	.protected	_Z27comm_aosoa_constants_directPK15HIP_vector_typeIfLj2EEPS0_S2_ ; -- Begin function _Z27comm_aosoa_constants_directPK15HIP_vector_typeIfLj2EEPS0_S2_
	.globl	_Z27comm_aosoa_constants_directPK15HIP_vector_typeIfLj2EEPS0_S2_
	.p2align	8
	.type	_Z27comm_aosoa_constants_directPK15HIP_vector_typeIfLj2EEPS0_S2_,@function
_Z27comm_aosoa_constants_directPK15HIP_vector_typeIfLj2EEPS0_S2_: ; @_Z27comm_aosoa_constants_directPK15HIP_vector_typeIfLj2EEPS0_S2_
; %bb.0:
	s_load_dwordx4 s[0:3], s[4:5], 0x0
	s_load_dwordx2 s[12:13], s[4:5], 0x10
	v_bfe_u32 v1, v0, 10, 10
	v_lshl_add_u32 v2, s7, 6, v1
	v_and_b32_e32 v25, 0x3ff, v0
	s_mul_i32 s7, s7, 0xc400
	s_movk_i32 s4, 0x310
	v_or_b32_e32 v0, s7, v25
	v_mad_u32_u24 v27, v1, s4, v0
	s_waitcnt lgkmcnt(0)
	s_add_u32 s14, s12, 0x16c
	v_mul_lo_u32 v24, v2, s4
	v_add_u32_e32 v26, 8, v25
	s_addc_u32 s15, s13, 0
	s_mov_b32 s17, 0
	v_mov_b32_e32 v1, 0
	v_mov_b32_e32 v28, s1
	;; [unrolled: 1-line block ×3, first 2 shown]
	s_mov_b32 s26, 0
.LBB14_1:                               ; =>This Loop Header: Depth=1
                                        ;     Child Loop BB14_2 Depth 2
	s_mul_i32 s16, s26, 7
	s_lshl_b64 s[4:5], s[16:17], 2
	s_add_u32 s22, s12, s4
	s_mul_i32 s4, s26, 0x70
	v_add_u32_e32 v4, s4, v24
	v_add_u32_e32 v0, v4, v25
	v_lshlrev_b64 v[2:3], 2, v[0:1]
	s_addc_u32 s23, s13, s5
	v_add_co_u32_e32 v2, vcc, s0, v2
	v_add_u32_e32 v0, v26, v4
	s_lshl_b32 s4, s16, 4
	v_addc_co_u32_e32 v3, vcc, v28, v3, vcc
	v_lshlrev_b64 v[4:5], 2, v[0:1]
	v_add3_u32 v8, s4, 16, v24
	v_add_co_u32_e32 v4, vcc, s0, v4
	v_add_u32_e32 v0, v8, v25
	v_addc_co_u32_e32 v5, vcc, v28, v5, vcc
	v_lshlrev_b64 v[6:7], 2, v[0:1]
	v_add_co_u32_e32 v6, vcc, s0, v6
	v_add_u32_e32 v0, v26, v8
	v_addc_co_u32_e32 v7, vcc, v28, v7, vcc
	v_lshlrev_b64 v[8:9], 2, v[0:1]
	v_add3_u32 v12, s4, 32, v24
	v_add_co_u32_e32 v8, vcc, s0, v8
	v_add_u32_e32 v0, v12, v25
	v_addc_co_u32_e32 v9, vcc, v28, v9, vcc
	v_lshlrev_b64 v[10:11], 2, v[0:1]
	v_add_co_u32_e32 v10, vcc, s0, v10
	v_add_u32_e32 v0, v26, v12
	;; [unrolled: 9-line block ×3, first 2 shown]
	v_addc_co_u32_e32 v15, vcc, v28, v15, vcc
	v_lshlrev_b64 v[16:17], 2, v[0:1]
	v_add_co_u32_e32 v16, vcc, s0, v16
	v_addc_co_u32_e32 v17, vcc, v28, v17, vcc
	global_load_dword v30, v[2:3], off
	global_load_dword v31, v[4:5], off
	;; [unrolled: 1-line block ×8, first 2 shown]
	v_add3_u32 v4, s4, 64, v24
	v_add_u32_e32 v0, v4, v25
	v_lshlrev_b64 v[2:3], 2, v[0:1]
	v_add_co_u32_e32 v2, vcc, s0, v2
	v_add_u32_e32 v0, v26, v4
	s_add_i32 s5, s4, 0x50
	v_addc_co_u32_e32 v3, vcc, v28, v3, vcc
	v_lshlrev_b64 v[4:5], 2, v[0:1]
	v_add_u32_e32 v8, s5, v24
	v_add_co_u32_e32 v4, vcc, s0, v4
	v_add_u32_e32 v0, v8, v25
	v_addc_co_u32_e32 v5, vcc, v28, v5, vcc
	v_lshlrev_b64 v[6:7], 2, v[0:1]
	v_add_co_u32_e32 v6, vcc, s0, v6
	v_add_u32_e32 v0, v26, v8
	s_addk_i32 s4, 0x60
	v_addc_co_u32_e32 v7, vcc, v28, v7, vcc
	v_lshlrev_b64 v[8:9], 2, v[0:1]
	v_add_u32_e32 v12, s4, v24
	v_add_co_u32_e32 v8, vcc, s0, v8
	v_add_u32_e32 v0, v12, v25
	v_addc_co_u32_e32 v9, vcc, v28, v9, vcc
	v_lshlrev_b64 v[10:11], 2, v[0:1]
	v_add_co_u32_e32 v10, vcc, s0, v10
	v_add_u32_e32 v0, v26, v12
	v_addc_co_u32_e32 v11, vcc, v28, v11, vcc
	v_lshlrev_b64 v[12:13], 2, v[0:1]
	v_add_co_u32_e32 v12, vcc, s0, v12
	v_addc_co_u32_e32 v13, vcc, v28, v13, vcc
	global_load_dword v38, v[2:3], off
	global_load_dword v39, v[4:5], off
	;; [unrolled: 1-line block ×6, first 2 shown]
	s_load_dwordx4 s[4:7], s[22:23], 0x0
	s_load_dwordx2 s[18:19], s[22:23], 0x10
	s_load_dword s16, s[22:23], 0x18
	s_load_dwordx4 s[8:11], s[22:23], 0xc4
	s_load_dwordx2 s[20:21], s[22:23], 0xd4
	s_load_dword s27, s[22:23], 0xdc
	s_mov_b64 s[22:23], s[14:15]
	s_mov_b32 s28, 0
.LBB14_2:                               ;   Parent Loop BB14_1 Depth=1
                                        ; =>  This Inner Loop Header: Depth=2
	v_add_u32_e32 v2, s28, v29
	v_mov_b32_e32 v3, v1
	v_add_u32_e32 v0, 8, v2
	v_lshlrev_b64 v[2:3], 2, v[2:3]
	v_mov_b32_e32 v4, s3
	v_add_co_u32_e32 v2, vcc, s2, v2
	v_lshlrev_b64 v[14:15], 2, v[0:1]
	v_addc_co_u32_e32 v3, vcc, v4, v3, vcc
	v_add_u32_e32 v0, s28, v27
	v_add_co_u32_e32 v14, vcc, s2, v14
	v_addc_co_u32_e32 v15, vcc, v4, v15, vcc
	v_lshlrev_b64 v[52:53], 2, v[0:1]
	v_mov_b32_e32 v44, s1
	v_mov_b32_e32 v5, v1
	v_add_u32_e32 v4, 8, v0
	v_add_co_u32_e32 v52, vcc, s0, v52
	v_addc_co_u32_e32 v53, vcc, v44, v53, vcc
	v_lshlrev_b64 v[4:5], 2, v[4:5]
	v_mov_b32_e32 v7, v1
	v_add_u32_e32 v6, 0x70, v0
	v_add_co_u32_e32 v4, vcc, s0, v4
	v_lshlrev_b64 v[6:7], 2, v[6:7]
	v_addc_co_u32_e32 v5, vcc, v44, v5, vcc
	s_add_u32 s24, s22, 0xfffffe94
	v_mov_b32_e32 v9, v1
	v_add_u32_e32 v8, 0x78, v0
	v_add_co_u32_e32 v6, vcc, s0, v6
	s_addc_u32 s25, s23, -1
	v_add_u32_e32 v10, 0xe0, v0
	v_add_u32_e32 v12, 0xe8, v0
	;; [unrolled: 1-line block ×10, first 2 shown]
	v_lshlrev_b64 v[8:9], 2, v[8:9]
	v_addc_co_u32_e32 v7, vcc, v44, v7, vcc
	v_mov_b32_e32 v11, v1
	s_load_dword s29, s[22:23], 0x0
	s_load_dword s30, s[24:25], 0x0
	global_load_dword v45, v[14:15], off
	global_load_dword v56, v[2:3], off
	v_lshlrev_b64 v[54:55], 2, v[0:1]
	global_load_dword v0, v[52:53], off
	v_add_co_u32_e32 v8, vcc, s0, v8
	v_lshlrev_b64 v[10:11], 2, v[10:11]
	v_addc_co_u32_e32 v9, vcc, v44, v9, vcc
	v_mov_b32_e32 v13, v1
	v_add_co_u32_e32 v10, vcc, s0, v10
	v_lshlrev_b64 v[12:13], 2, v[12:13]
	v_addc_co_u32_e32 v11, vcc, v44, v11, vcc
	v_mov_b32_e32 v17, v1
	;; [unrolled: 4-line block ×8, first 2 shown]
	v_add_co_u32_e32 v48, vcc, s0, v48
	v_lshlrev_b64 v[50:51], 2, v[50:51]
	v_addc_co_u32_e32 v49, vcc, v44, v49, vcc
	v_add_co_u32_e32 v50, vcc, s0, v50
	s_add_u32 s24, s22, 0xffffff58
	v_addc_co_u32_e32 v51, vcc, v44, v51, vcc
	s_addc_u32 s25, s23, -1
	v_add_co_u32_e32 v52, vcc, s0, v54
	s_load_dword s31, s[24:25], 0x0
	v_addc_co_u32_e32 v53, vcc, v44, v55, vcc
	global_load_dword v44, v[4:5], off
	global_load_dword v54, v[6:7], off
	;; [unrolled: 1-line block ×10, first 2 shown]
                                        ; kill: killed $vgpr8 killed $vgpr9
                                        ; kill: killed $vgpr46 killed $vgpr47
                                        ; kill: killed $vgpr4 killed $vgpr5
                                        ; kill: killed $vgpr20 killed $vgpr21
                                        ; kill: killed $vgpr22 killed $vgpr23
                                        ; kill: killed $vgpr16 killed $vgpr17
                                        ; kill: killed $vgpr18 killed $vgpr19
                                        ; kill: killed $vgpr10 killed $vgpr11
                                        ; kill: killed $vgpr12 killed $vgpr13
                                        ; kill: killed $vgpr6 killed $vgpr7
	global_load_dword v4, v[48:49], off
	s_add_u32 s24, s22, 0xfffffeb0
	s_addc_u32 s25, s23, -1
	s_load_dword s33, s[24:25], 0x0
	global_load_dword v5, v[50:51], off
	global_load_dword v6, v[52:53], off
	s_add_u32 s24, s22, 0xffffff74
	s_addc_u32 s25, s23, -1
	s_load_dword s34, s[24:25], 0x0
	s_add_u32 s24, s22, 0xfffffecc
	s_addc_u32 s25, s23, -1
	s_load_dword s35, s[24:25], 0x0
	;; [unrolled: 3-line block ×3, first 2 shown]
	s_add_u32 s24, s22, 0xfffffee8
	s_waitcnt vmcnt(13) lgkmcnt(0)
	v_fma_f32 v7, -s4, v0, v45
	v_fmac_f32_e32 v7, s30, v30
	s_addc_u32 s25, s23, -1
	s_load_dword s37, s[24:25], 0x0
	s_add_u32 s24, s22, 0xffffffac
	s_addc_u32 s25, s23, -1
	s_load_dword s38, s[24:25], 0x0
	s_add_u32 s24, s22, 0xffffff04
	;; [unrolled: 3-line block ×6, first 2 shown]
	s_addc_u32 s25, s23, -1
	s_load_dword s24, s[24:25], 0x0
	s_add_i32 s28, s28, 16
	s_add_u32 s22, s22, 4
	s_addc_u32 s23, s23, 0
	s_cmpk_lg_i32 s28, 0x70
	s_waitcnt vmcnt(12)
	v_fmac_f32_e32 v56, s4, v44
	v_fmac_f32_e32 v7, s8, v44
	v_fma_f32 v8, -v30, s31, v56
	v_fma_f32 v7, -v31, s31, v7
	v_fmac_f32_e32 v8, s8, v0
	v_fma_f32 v0, -s30, v31, v8
	s_waitcnt vmcnt(11)
	v_fma_f32 v7, -s5, v54, v7
	v_fmac_f32_e32 v7, s33, v32
	s_waitcnt vmcnt(10)
	v_fmac_f32_e32 v0, s5, v55
	v_fmac_f32_e32 v7, s9, v55
	v_fma_f32 v0, -v32, s34, v0
	v_fma_f32 v7, -v33, s34, v7
	v_fmac_f32_e32 v0, s9, v54
	v_fma_f32 v0, -s33, v33, v0
	s_waitcnt vmcnt(9)
	v_fma_f32 v7, -s6, v57, v7
	v_fmac_f32_e32 v7, s35, v34
	s_waitcnt vmcnt(8)
	v_fmac_f32_e32 v0, s6, v58
	v_fmac_f32_e32 v7, s10, v58
	v_fma_f32 v0, -v34, s36, v0
	v_fma_f32 v7, -v35, s36, v7
	v_fmac_f32_e32 v0, s10, v57
	v_fma_f32 v0, -s35, v35, v0
	s_waitcnt vmcnt(7)
	v_fma_f32 v7, -s7, v59, v7
	s_waitcnt lgkmcnt(0)
	v_fmac_f32_e32 v7, s37, v36
	s_waitcnt vmcnt(6)
	v_fmac_f32_e32 v0, s7, v60
	v_fmac_f32_e32 v7, s11, v60
	v_fma_f32 v0, -v36, s38, v0
	v_fma_f32 v7, -v37, s38, v7
	v_fmac_f32_e32 v0, s11, v59
	v_fma_f32 v0, -s37, v37, v0
	s_waitcnt vmcnt(5)
	v_fma_f32 v7, -s18, v61, v7
	v_fmac_f32_e32 v7, s39, v38
	s_waitcnt vmcnt(4)
	v_fmac_f32_e32 v0, s18, v62
	v_fmac_f32_e32 v7, s20, v62
	v_fma_f32 v0, -v38, s40, v0
	v_fma_f32 v7, -v39, s40, v7
	v_fmac_f32_e32 v0, s20, v61
	v_fma_f32 v0, -s39, v39, v0
	s_waitcnt vmcnt(3)
	v_fma_f32 v7, -s19, v63, v7
	;; [unrolled: 10-line block ×3, first 2 shown]
	v_fmac_f32_e32 v4, s24, v42
	s_waitcnt vmcnt(0)
	v_fmac_f32_e32 v0, s16, v6
	v_fmac_f32_e32 v4, s27, v6
	v_fma_f32 v0, -v42, s29, v0
	v_fma_f32 v4, -v43, s29, v4
	v_fmac_f32_e32 v0, s27, v5
	v_fma_f32 v0, -s24, v43, v0
	global_store_dword v[14:15], v4, off
	global_store_dword v[2:3], v0, off
	s_cbranch_scc1 .LBB14_2
; %bb.3:                                ;   in Loop: Header=BB14_1 Depth=1
	s_add_i32 s26, s26, 1
	s_cmp_eq_u32 s26, 7
	v_add_u32_e32 v29, 0x70, v29
	s_cbranch_scc0 .LBB14_1
; %bb.4:
	s_endpgm
	.section	.rodata,"a",@progbits
	.p2align	6, 0x0
	.amdhsa_kernel _Z27comm_aosoa_constants_directPK15HIP_vector_typeIfLj2EEPS0_S2_
		.amdhsa_group_segment_fixed_size 0
		.amdhsa_private_segment_fixed_size 0
		.amdhsa_kernarg_size 24
		.amdhsa_user_sgpr_count 6
		.amdhsa_user_sgpr_private_segment_buffer 1
		.amdhsa_user_sgpr_dispatch_ptr 0
		.amdhsa_user_sgpr_queue_ptr 0
		.amdhsa_user_sgpr_kernarg_segment_ptr 1
		.amdhsa_user_sgpr_dispatch_id 0
		.amdhsa_user_sgpr_flat_scratch_init 0
		.amdhsa_user_sgpr_kernarg_preload_length 0
		.amdhsa_user_sgpr_kernarg_preload_offset 0
		.amdhsa_user_sgpr_private_segment_size 0
		.amdhsa_uses_dynamic_stack 0
		.amdhsa_system_sgpr_private_segment_wavefront_offset 0
		.amdhsa_system_sgpr_workgroup_id_x 1
		.amdhsa_system_sgpr_workgroup_id_y 1
		.amdhsa_system_sgpr_workgroup_id_z 0
		.amdhsa_system_sgpr_workgroup_info 0
		.amdhsa_system_vgpr_workitem_id 1
		.amdhsa_next_free_vgpr 64
		.amdhsa_next_free_sgpr 43
		.amdhsa_accum_offset 64
		.amdhsa_reserve_vcc 1
		.amdhsa_reserve_flat_scratch 0
		.amdhsa_float_round_mode_32 0
		.amdhsa_float_round_mode_16_64 0
		.amdhsa_float_denorm_mode_32 3
		.amdhsa_float_denorm_mode_16_64 3
		.amdhsa_dx10_clamp 1
		.amdhsa_ieee_mode 1
		.amdhsa_fp16_overflow 0
		.amdhsa_tg_split 0
		.amdhsa_exception_fp_ieee_invalid_op 0
		.amdhsa_exception_fp_denorm_src 0
		.amdhsa_exception_fp_ieee_div_zero 0
		.amdhsa_exception_fp_ieee_overflow 0
		.amdhsa_exception_fp_ieee_underflow 0
		.amdhsa_exception_fp_ieee_inexact 0
		.amdhsa_exception_int_div_zero 0
	.end_amdhsa_kernel
	.text
.Lfunc_end14:
	.size	_Z27comm_aosoa_constants_directPK15HIP_vector_typeIfLj2EEPS0_S2_, .Lfunc_end14-_Z27comm_aosoa_constants_directPK15HIP_vector_typeIfLj2EEPS0_S2_
                                        ; -- End function
	.section	.AMDGPU.csdata,"",@progbits
; Kernel info:
; codeLenInByte = 1924
; NumSgprs: 47
; NumVgprs: 64
; NumAgprs: 0
; TotalNumVgprs: 64
; ScratchSize: 0
; MemoryBound: 0
; FloatMode: 240
; IeeeMode: 1
; LDSByteSize: 0 bytes/workgroup (compile time only)
; SGPRBlocks: 5
; VGPRBlocks: 7
; NumSGPRsForWavesPerEU: 47
; NumVGPRsForWavesPerEU: 64
; AccumOffset: 64
; Occupancy: 8
; WaveLimiterHint : 0
; COMPUTE_PGM_RSRC2:SCRATCH_EN: 0
; COMPUTE_PGM_RSRC2:USER_SGPR: 6
; COMPUTE_PGM_RSRC2:TRAP_HANDLER: 0
; COMPUTE_PGM_RSRC2:TGID_X_EN: 1
; COMPUTE_PGM_RSRC2:TGID_Y_EN: 1
; COMPUTE_PGM_RSRC2:TGID_Z_EN: 0
; COMPUTE_PGM_RSRC2:TIDIG_COMP_CNT: 1
; COMPUTE_PGM_RSRC3_GFX90A:ACCUM_OFFSET: 15
; COMPUTE_PGM_RSRC3_GFX90A:TG_SPLIT: 0
	.text
	.protected	_Z32comm_aosoa_constants_direct_permPK15HIP_vector_typeIfLj2EEPS0_S2_ ; -- Begin function _Z32comm_aosoa_constants_direct_permPK15HIP_vector_typeIfLj2EEPS0_S2_
	.globl	_Z32comm_aosoa_constants_direct_permPK15HIP_vector_typeIfLj2EEPS0_S2_
	.p2align	8
	.type	_Z32comm_aosoa_constants_direct_permPK15HIP_vector_typeIfLj2EEPS0_S2_,@function
_Z32comm_aosoa_constants_direct_permPK15HIP_vector_typeIfLj2EEPS0_S2_: ; @_Z32comm_aosoa_constants_direct_permPK15HIP_vector_typeIfLj2EEPS0_S2_
; %bb.0:
	s_load_dwordx4 s[8:11], s[4:5], 0x0
	s_load_dwordx2 s[2:3], s[4:5], 0x10
	v_bfe_u32 v1, v0, 10, 10
	v_lshl_add_u32 v2, s7, 6, v1
	v_and_b32_e32 v33, 0x3ff, v0
	s_mul_i32 s7, s7, 0xc400
	s_movk_i32 s0, 0x310
	v_or_b32_e32 v36, s7, v33
	v_mul_lo_u32 v32, v2, s0
	v_add_u32_e32 v34, 8, v33
	v_mul_u32_u24_e32 v35, 0x310, v1
	s_mov_b32 s24, 0
	s_mov_b64 s[16:17], 0xc4
	v_mov_b32_e32 v1, 0
	s_waitcnt lgkmcnt(0)
	v_mov_b32_e32 v37, s11
	v_mov_b32_e32 v38, v36
.LBB15_1:                               ; =>This Loop Header: Depth=1
                                        ;     Child Loop BB15_2 Depth 2
	s_mul_i32 s0, s24, 0x70
	v_add_u32_e32 v26, s0, v32
	v_add_u32_e32 v0, v34, v26
	v_lshlrev_b64 v[2:3], 2, v[0:1]
	v_add_co_u32_e32 v2, vcc, s10, v2
	v_add_u32_e32 v0, v26, v33
	v_addc_co_u32_e32 v3, vcc, v37, v3, vcc
	v_lshlrev_b64 v[4:5], 2, v[0:1]
	v_add_u32_e32 v8, 16, v26
	v_add_co_u32_e32 v4, vcc, s10, v4
	v_add_u32_e32 v0, v34, v8
	v_addc_co_u32_e32 v5, vcc, v37, v5, vcc
	v_lshlrev_b64 v[6:7], 2, v[0:1]
	v_add_co_u32_e32 v6, vcc, s10, v6
	v_add_u32_e32 v0, v8, v33
	v_addc_co_u32_e32 v7, vcc, v37, v7, vcc
	v_lshlrev_b64 v[8:9], 2, v[0:1]
	v_add_u32_e32 v12, 32, v26
	v_add_co_u32_e32 v8, vcc, s10, v8
	v_add_u32_e32 v0, v34, v12
	v_addc_co_u32_e32 v9, vcc, v37, v9, vcc
	;; [unrolled: 9-line block ×6, first 2 shown]
	v_lshlrev_b64 v[26:27], 2, v[0:1]
	v_add_co_u32_e32 v26, vcc, s10, v26
	v_add_u32_e32 v0, v28, v33
	v_addc_co_u32_e32 v27, vcc, v37, v27, vcc
	v_lshlrev_b64 v[28:29], 2, v[0:1]
	v_add_co_u32_e32 v28, vcc, s10, v28
	v_addc_co_u32_e32 v29, vcc, v37, v29, vcc
	s_mov_b64 s[18:19], 0
	v_mov_b32_e32 v39, v38
	v_mov_b32_e32 v40, v36
	s_mov_b64 s[20:21], s[16:17]
.LBB15_2:                               ;   Parent Loop BB15_1 Depth=1
                                        ; =>  This Inner Loop Header: Depth=2
	v_add_u32_e32 v0, v35, v39
	v_lshlrev_b64 v[42:43], 2, v[0:1]
	v_mov_b32_e32 v41, s9
	v_add_u32_e32 v0, 8, v0
	v_add_co_u32_e32 v42, vcc, s8, v42
	v_lshlrev_b64 v[44:45], 2, v[0:1]
	v_addc_co_u32_e32 v43, vcc, v41, v43, vcc
	v_add_u32_e32 v0, v35, v40
	v_add_co_u32_e32 v44, vcc, s8, v44
	v_lshlrev_b64 v[46:47], 2, v[0:1]
	v_addc_co_u32_e32 v45, vcc, v41, v45, vcc
	v_mov_b32_e32 v31, v1
	v_add_u32_e32 v30, 8, v0
	v_add_co_u32_e32 v46, vcc, s8, v46
	v_lshlrev_b64 v[30:31], 2, v[30:31]
	v_addc_co_u32_e32 v47, vcc, v41, v47, vcc
	global_load_dword v50, v[2:3], off
	global_load_dword v51, v[4:5], off
	v_add_co_u32_e32 v48, vcc, s8, v30
	global_load_dword v42, v[42:43], off
	v_addc_co_u32_e32 v49, vcc, v41, v31, vcc
	global_load_dword v43, v[46:47], off
	global_load_dword v31, v[48:49], off
	;; [unrolled: 1-line block ×3, first 2 shown]
	s_add_u32 s0, s2, s20
	s_addc_u32 s1, s3, s21
	s_add_u32 s4, s0, 0xffffff3c
	s_addc_u32 s5, s1, -1
	s_load_dword s11, s[0:1], 0x0
	s_load_dword s25, s[4:5], 0x0
	s_add_u32 s22, s2, s18
	v_mov_b32_e32 v45, v1
	v_add_u32_e32 v44, 16, v0
	s_addc_u32 s23, s3, s19
	v_mov_b32_e32 v47, v1
	v_add_u32_e32 v46, 24, v0
	v_lshlrev_b64 v[44:45], 2, v[44:45]
	s_load_dwordx4 s[4:7], s[22:23], 0x0
	s_load_dwordx4 s[12:15], s[22:23], 0xc4
	v_lshlrev_b64 v[46:47], 2, v[46:47]
	v_add_co_u32_e32 v44, vcc, s8, v44
	v_add_co_u32_e64 v46, s[0:1], s8, v46
	v_addc_co_u32_e32 v45, vcc, v41, v45, vcc
	v_addc_co_u32_e64 v47, vcc, v41, v47, s[0:1]
	global_load_dword v48, v[44:45], off
	global_load_dword v49, v[46:47], off
	v_mov_b32_e32 v45, v1
	v_mov_b32_e32 v47, v1
	v_add_u32_e32 v46, 40, v0
	v_lshlrev_b64 v[46:47], 2, v[46:47]
	v_add_co_u32_e64 v46, s[0:1], s8, v46
	s_add_u32 s20, s20, 4
	s_addc_u32 s21, s21, 0
	s_add_u32 s18, s18, 28
	s_addc_u32 s19, s19, 0
	v_add_u32_e32 v39, 16, v39
	v_add_u32_e32 v40, 0x70, v40
	s_cmpk_eq_i32 s18, 0xc4
	s_waitcnt vmcnt(4) lgkmcnt(0)
	v_fma_f32 v44, -s25, v43, v50
	v_fmac_f32_e32 v44, s4, v42
	s_waitcnt vmcnt(3)
	v_fmac_f32_e32 v51, s25, v31
	v_fmac_f32_e32 v44, s11, v31
	v_fma_f32 v31, -v42, s12, v51
	v_fmac_f32_e32 v31, s11, v43
	s_waitcnt vmcnt(2)
	v_fma_f32 v44, -v30, s12, v44
	v_fma_f32 v31, -v30, s4, v31
	global_store_dword v[2:3], v44, off
	global_store_dword v[4:5], v31, off
	global_load_dword v31, v[8:9], off
	s_nop 0
	global_load_dword v43, v[6:7], off
	v_add_u32_e32 v44, 32, v0
	v_lshlrev_b64 v[44:45], 2, v[44:45]
	v_add_co_u32_e32 v44, vcc, s8, v44
	v_addc_co_u32_e32 v45, vcc, v41, v45, vcc
	v_addc_co_u32_e64 v47, vcc, v41, v47, s[0:1]
	global_load_dword v50, v[44:45], off
	global_load_dword v51, v[46:47], off
	v_mov_b32_e32 v45, v1
	v_add_u32_e32 v44, 48, v0
	v_mov_b32_e32 v47, v1
	v_add_u32_e32 v46, 56, v0
	v_lshlrev_b64 v[44:45], 2, v[44:45]
	v_lshlrev_b64 v[46:47], 2, v[46:47]
	v_add_co_u32_e32 v44, vcc, s8, v44
	v_add_co_u32_e64 v46, s[0:1], s8, v46
	v_addc_co_u32_e32 v45, vcc, v41, v45, vcc
	v_addc_co_u32_e64 v47, vcc, v41, v47, s[0:1]
	s_waitcnt vmcnt(3)
	v_fmac_f32_e32 v31, s25, v49
	s_waitcnt vmcnt(2)
	v_fma_f32 v43, -s25, v48, v43
	v_fma_f32 v31, -v42, s13, v31
	v_fmac_f32_e32 v43, s5, v42
	v_fmac_f32_e32 v31, s11, v48
	;; [unrolled: 1-line block ×3, first 2 shown]
	v_fma_f32 v31, -v30, s5, v31
	v_fma_f32 v43, -v30, s13, v43
	global_store_dword v[8:9], v31, off
	global_store_dword v[6:7], v43, off
	global_load_dword v31, v[10:11], off
	s_nop 0
	global_load_dword v43, v[12:13], off
	global_load_dword v48, v[44:45], off
	;; [unrolled: 1-line block ×3, first 2 shown]
	v_mov_b32_e32 v45, v1
	v_add_u32_e32 v44, 64, v0
	v_mov_b32_e32 v47, v1
	v_add_u32_e32 v46, 0x48, v0
	v_lshlrev_b64 v[44:45], 2, v[44:45]
	v_lshlrev_b64 v[46:47], 2, v[46:47]
	v_add_co_u32_e32 v44, vcc, s8, v44
	v_add_co_u32_e64 v46, s[0:1], s8, v46
	v_addc_co_u32_e32 v45, vcc, v41, v45, vcc
	v_addc_co_u32_e64 v47, vcc, v41, v47, s[0:1]
	s_waitcnt vmcnt(3)
	v_fma_f32 v31, -s25, v50, v31
	s_waitcnt vmcnt(2)
	v_fmac_f32_e32 v43, s25, v51
	v_fmac_f32_e32 v31, s6, v42
	v_fma_f32 v43, -v42, s14, v43
	v_fmac_f32_e32 v31, s11, v51
	v_fmac_f32_e32 v43, s11, v50
	v_fma_f32 v31, -v30, s14, v31
	v_fma_f32 v43, -v30, s6, v43
	global_store_dword v[10:11], v31, off
	global_store_dword v[12:13], v43, off
	global_load_dword v31, v[16:17], off
	s_nop 0
	global_load_dword v43, v[14:15], off
	global_load_dword v50, v[44:45], off
	;; [unrolled: 1-line block ×3, first 2 shown]
	v_mov_b32_e32 v45, v1
	v_add_u32_e32 v44, 0x50, v0
	v_mov_b32_e32 v47, v1
	v_add_u32_e32 v46, 0x58, v0
	v_lshlrev_b64 v[44:45], 2, v[44:45]
	v_lshlrev_b64 v[46:47], 2, v[46:47]
	v_add_co_u32_e32 v44, vcc, s8, v44
	v_add_co_u32_e64 v46, s[0:1], s8, v46
	v_addc_co_u32_e32 v45, vcc, v41, v45, vcc
	v_addc_co_u32_e64 v47, vcc, v41, v47, s[0:1]
	s_waitcnt vmcnt(3)
	v_fmac_f32_e32 v31, s25, v49
	s_waitcnt vmcnt(2)
	v_fma_f32 v43, -s25, v48, v43
	v_fma_f32 v31, -v42, s15, v31
	v_fmac_f32_e32 v43, s7, v42
	v_fmac_f32_e32 v31, s11, v48
	;; [unrolled: 1-line block ×3, first 2 shown]
	v_fma_f32 v31, -v30, s7, v31
	v_fma_f32 v43, -v30, s15, v43
	global_store_dword v[16:17], v31, off
	global_store_dword v[14:15], v43, off
	global_load_dword v31, v[18:19], off
	s_nop 0
	global_load_dword v43, v[20:21], off
	s_load_dwordx2 s[4:5], s[22:23], 0x10
	s_load_dwordx2 s[6:7], s[22:23], 0xd4
	global_load_dword v48, v[44:45], off
	global_load_dword v49, v[46:47], off
	v_mov_b32_e32 v45, v1
	v_add_u32_e32 v44, 0x60, v0
	v_add_u32_e32 v0, 0x68, v0
	v_lshlrev_b64 v[44:45], 2, v[44:45]
	v_lshlrev_b64 v[46:47], 2, v[0:1]
	v_add_co_u32_e32 v44, vcc, s8, v44
	v_add_co_u32_e64 v46, s[0:1], s8, v46
	v_addc_co_u32_e32 v45, vcc, v41, v45, vcc
	v_addc_co_u32_e64 v47, vcc, v41, v47, s[0:1]
	s_waitcnt vmcnt(3)
	v_fma_f32 v31, -s25, v50, v31
	s_waitcnt vmcnt(2)
	v_fmac_f32_e32 v43, s25, v51
	s_waitcnt lgkmcnt(0)
	v_fmac_f32_e32 v31, s4, v42
	v_fma_f32 v43, -v42, s6, v43
	v_fmac_f32_e32 v31, s11, v51
	v_fmac_f32_e32 v43, s11, v50
	v_fma_f32 v31, -v30, s6, v31
	v_fma_f32 v43, -v30, s4, v43
	global_store_dword v[18:19], v31, off
	global_store_dword v[20:21], v43, off
	global_load_dword v31, v[24:25], off
	s_nop 0
	global_load_dword v43, v[22:23], off
	global_load_dword v0, v[44:45], off
	;; [unrolled: 1-line block ×3, first 2 shown]
	s_waitcnt vmcnt(3)
	v_fmac_f32_e32 v31, s25, v49
	s_waitcnt vmcnt(2)
	v_fma_f32 v43, -s25, v48, v43
	v_fma_f32 v31, -v42, s7, v31
	v_fmac_f32_e32 v43, s5, v42
	v_fmac_f32_e32 v31, s11, v48
	;; [unrolled: 1-line block ×3, first 2 shown]
	v_fma_f32 v31, -v30, s5, v31
	v_fma_f32 v43, -v30, s7, v43
	global_store_dword v[24:25], v31, off
	global_store_dword v[22:23], v43, off
	global_load_dword v31, v[26:27], off
	s_nop 0
	global_load_dword v43, v[28:29], off
	s_load_dword s0, s[22:23], 0x18
	s_load_dword s1, s[22:23], 0xdc
	s_waitcnt vmcnt(1)
	v_fma_f32 v31, -s25, v0, v31
	s_waitcnt vmcnt(0)
	v_fmac_f32_e32 v43, s25, v41
	s_waitcnt lgkmcnt(0)
	v_fmac_f32_e32 v31, s0, v42
	v_fma_f32 v42, -v42, s1, v43
	v_fmac_f32_e32 v31, s11, v41
	v_fmac_f32_e32 v42, s11, v0
	v_fma_f32 v0, -v30, s1, v31
	v_fma_f32 v30, -v30, s0, v42
	global_store_dword v[26:27], v0, off
	global_store_dword v[28:29], v30, off
	s_cbranch_scc0 .LBB15_2
; %bb.3:                                ;   in Loop: Header=BB15_1 Depth=1
	s_add_i32 s24, s24, 1
	s_add_u32 s16, s16, 28
	s_addc_u32 s17, s17, 0
	s_cmp_eq_u32 s24, 7
	v_add_u32_e32 v38, 0x70, v38
	s_cbranch_scc0 .LBB15_1
; %bb.4:
	s_endpgm
	.section	.rodata,"a",@progbits
	.p2align	6, 0x0
	.amdhsa_kernel _Z32comm_aosoa_constants_direct_permPK15HIP_vector_typeIfLj2EEPS0_S2_
		.amdhsa_group_segment_fixed_size 0
		.amdhsa_private_segment_fixed_size 0
		.amdhsa_kernarg_size 24
		.amdhsa_user_sgpr_count 6
		.amdhsa_user_sgpr_private_segment_buffer 1
		.amdhsa_user_sgpr_dispatch_ptr 0
		.amdhsa_user_sgpr_queue_ptr 0
		.amdhsa_user_sgpr_kernarg_segment_ptr 1
		.amdhsa_user_sgpr_dispatch_id 0
		.amdhsa_user_sgpr_flat_scratch_init 0
		.amdhsa_user_sgpr_kernarg_preload_length 0
		.amdhsa_user_sgpr_kernarg_preload_offset 0
		.amdhsa_user_sgpr_private_segment_size 0
		.amdhsa_uses_dynamic_stack 0
		.amdhsa_system_sgpr_private_segment_wavefront_offset 0
		.amdhsa_system_sgpr_workgroup_id_x 1
		.amdhsa_system_sgpr_workgroup_id_y 1
		.amdhsa_system_sgpr_workgroup_id_z 0
		.amdhsa_system_sgpr_workgroup_info 0
		.amdhsa_system_vgpr_workitem_id 1
		.amdhsa_next_free_vgpr 52
		.amdhsa_next_free_sgpr 26
		.amdhsa_accum_offset 52
		.amdhsa_reserve_vcc 1
		.amdhsa_reserve_flat_scratch 0
		.amdhsa_float_round_mode_32 0
		.amdhsa_float_round_mode_16_64 0
		.amdhsa_float_denorm_mode_32 3
		.amdhsa_float_denorm_mode_16_64 3
		.amdhsa_dx10_clamp 1
		.amdhsa_ieee_mode 1
		.amdhsa_fp16_overflow 0
		.amdhsa_tg_split 0
		.amdhsa_exception_fp_ieee_invalid_op 0
		.amdhsa_exception_fp_denorm_src 0
		.amdhsa_exception_fp_ieee_div_zero 0
		.amdhsa_exception_fp_ieee_overflow 0
		.amdhsa_exception_fp_ieee_underflow 0
		.amdhsa_exception_fp_ieee_inexact 0
		.amdhsa_exception_int_div_zero 0
	.end_amdhsa_kernel
	.text
.Lfunc_end15:
	.size	_Z32comm_aosoa_constants_direct_permPK15HIP_vector_typeIfLj2EEPS0_S2_, .Lfunc_end15-_Z32comm_aosoa_constants_direct_permPK15HIP_vector_typeIfLj2EEPS0_S2_
                                        ; -- End function
	.section	.AMDGPU.csdata,"",@progbits
; Kernel info:
; codeLenInByte = 1824
; NumSgprs: 30
; NumVgprs: 52
; NumAgprs: 0
; TotalNumVgprs: 52
; ScratchSize: 0
; MemoryBound: 0
; FloatMode: 240
; IeeeMode: 1
; LDSByteSize: 0 bytes/workgroup (compile time only)
; SGPRBlocks: 3
; VGPRBlocks: 6
; NumSGPRsForWavesPerEU: 30
; NumVGPRsForWavesPerEU: 52
; AccumOffset: 52
; Occupancy: 8
; WaveLimiterHint : 1
; COMPUTE_PGM_RSRC2:SCRATCH_EN: 0
; COMPUTE_PGM_RSRC2:USER_SGPR: 6
; COMPUTE_PGM_RSRC2:TRAP_HANDLER: 0
; COMPUTE_PGM_RSRC2:TGID_X_EN: 1
; COMPUTE_PGM_RSRC2:TGID_Y_EN: 1
; COMPUTE_PGM_RSRC2:TGID_Z_EN: 0
; COMPUTE_PGM_RSRC2:TIDIG_COMP_CNT: 1
; COMPUTE_PGM_RSRC3_GFX90A:ACCUM_OFFSET: 12
; COMPUTE_PGM_RSRC3_GFX90A:TG_SPLIT: 0
	.text
	.protected	_Z17comm_manual_aosoaPK15HIP_vector_typeIfLj2EEPS0_S2_i ; -- Begin function _Z17comm_manual_aosoaPK15HIP_vector_typeIfLj2EEPS0_S2_i
	.globl	_Z17comm_manual_aosoaPK15HIP_vector_typeIfLj2EEPS0_S2_i
	.p2align	8
	.type	_Z17comm_manual_aosoaPK15HIP_vector_typeIfLj2EEPS0_S2_i,@function
_Z17comm_manual_aosoaPK15HIP_vector_typeIfLj2EEPS0_S2_i: ; @_Z17comm_manual_aosoaPK15HIP_vector_typeIfLj2EEPS0_S2_i
; %bb.0:
	s_load_dword s8, s[4:5], 0x18
	s_waitcnt lgkmcnt(0)
	s_cmp_lt_i32 s8, 1
	s_cbranch_scc1 .LBB16_7
; %bb.1:
	s_load_dword s7, s[4:5], 0x2c
	s_load_dwordx4 s[0:3], s[4:5], 0x0
	s_load_dwordx2 s[10:11], s[4:5], 0x10
	s_mul_i32 s23, s8, s8
	s_mov_b32 s5, 0
	s_waitcnt lgkmcnt(0)
	s_and_b32 s4, s7, 0xffff
	s_mul_i32 s6, s6, s4
	v_add_u32_e32 v0, s6, v0
	v_mul_lo_u32 v12, v0, s8
	v_mul_lo_u32 v0, s23, v0
	s_mov_b32 s9, s5
	v_lshlrev_b32_e32 v13, 1, v0
	s_lshl_b64 s[6:7], s[8:9], 2
	s_lshl_b32 s9, s8, 1
	v_mov_b32_e32 v14, s1
	v_mov_b32_e32 v15, v13
	s_mov_b64 s[12:13], s[10:11]
	s_mov_b32 s1, s23
	s_mov_b32 s25, 0
.LBB16_2:                               ; =>This Loop Header: Depth=1
                                        ;     Child Loop BB16_3 Depth 2
                                        ;       Child Loop BB16_4 Depth 3
	v_add_u32_e32 v0, s25, v12
	v_mul_lo_u32 v16, v0, s8
	v_mov_b32_e32 v17, v13
	s_mov_b64 s[14:15], s[10:11]
	s_mov_b32 s26, s23
	s_mov_b32 s27, s5
.LBB16_3:                               ;   Parent Loop BB16_2 Depth=1
                                        ; =>  This Loop Header: Depth=2
                                        ;       Child Loop BB16_4 Depth 3
	v_mov_b32_e32 v0, 0
	s_mov_b32 s28, 0
	v_mov_b32_e32 v8, v15
	s_mov_b64 s[16:17], s[12:13]
	v_mov_b32_e32 v10, v17
	s_mov_b64 s[18:19], s[14:15]
	s_mov_b32 s20, s26
	v_mov_b32_e32 v1, v0
	v_mov_b32_e32 v2, v0
	;; [unrolled: 1-line block ×7, first 2 shown]
.LBB16_4:                               ;   Parent Loop BB16_2 Depth=1
                                        ;     Parent Loop BB16_3 Depth=2
                                        ; =>    This Inner Loop Header: Depth=3
	v_ashrrev_i32_e32 v11, 31, v10
	v_lshlrev_b64 v[18:19], 4, v[10:11]
	v_ashrrev_i32_e32 v9, 31, v8
	v_add_co_u32_e32 v34, vcc, s0, v18
	v_lshlrev_b64 v[20:21], 4, v[8:9]
	v_addc_co_u32_e32 v35, vcc, v14, v19, vcc
	v_add_co_u32_e32 v36, vcc, s0, v20
	v_addc_co_u32_e32 v37, vcc, v14, v21, vcc
	global_load_dwordx4 v[18:21], v[34:35], off
	global_load_dwordx4 v[22:25], v[36:37], off offset:16
	global_load_dwordx4 v[26:29], v[34:35], off offset:16
	global_load_dwordx4 v[30:33], v[36:37], off
	s_add_i32 s4, s1, s28
	s_lshl_b64 s[30:31], s[4:5], 2
	s_add_u32 s30, s10, s30
	s_addc_u32 s31, s11, s31
	s_ashr_i32 s21, s20, 31
	s_lshl_b64 s[34:35], s[20:21], 2
	s_load_dword s24, s[16:17], 0x0
	s_load_dword s22, s[18:19], 0x0
	;; [unrolled: 1-line block ×3, first 2 shown]
	s_add_u32 s30, s10, s34
	s_addc_u32 s31, s11, s35
	s_load_dword s30, s[30:31], 0x0
	s_add_i32 s28, s28, 1
	s_add_i32 s20, s20, s8
	s_add_u32 s18, s18, s6
	s_addc_u32 s19, s19, s7
	s_add_u32 s16, s16, 4
	s_addc_u32 s17, s17, 0
	v_add_u32_e32 v10, s9, v10
	v_add_u32_e32 v8, 2, v8
	s_cmp_eq_u32 s8, s28
	s_waitcnt vmcnt(3)
	v_xor_b32_e32 v35, 0x80000000, v21
	v_xor_b32_e32 v34, 0x80000000, v20
	s_waitcnt lgkmcnt(0)
	v_pk_fma_f32 v[6:7], v[18:19], s[24:25], v[6:7] op_sel_hi:[1,0,1] neg_lo:[1,0,0] neg_hi:[1,0,0]
	s_waitcnt vmcnt(1)
	v_pk_fma_f32 v[0:1], s[24:25], v[26:27], v[0:1] op_sel_hi:[0,1,1]
	v_pk_fma_f32 v[2:3], s[24:25], v[28:29], v[2:3] op_sel_hi:[0,1,1]
	s_waitcnt vmcnt(0)
	v_xor_b32_e32 v39, 0x80000000, v33
	v_xor_b32_e32 v38, 0x80000000, v32
	v_pk_fma_f32 v[4:5], v[34:35], s[24:25], v[4:5] op_sel_hi:[1,0,1]
	v_pk_fma_f32 v[6:7], v[30:31], s[22:23], v[6:7] op_sel_hi:[1,0,1]
	;; [unrolled: 1-line block ×3, first 2 shown]
	v_pk_fma_f32 v[0:1], v[30:31], s[30:31], v[0:1] op_sel_hi:[1,0,1] neg_lo:[1,0,0] neg_hi:[1,0,0]
	v_pk_fma_f32 v[4:5], v[32:33], s[22:23], v[4:5] op_sel_hi:[1,0,1]
	v_xor_b32_e32 v37, 0x80000000, v25
	v_xor_b32_e32 v36, 0x80000000, v24
	v_pk_fma_f32 v[6:7], v[26:27], s[4:5], v[6:7] op_sel_hi:[1,0,1]
	v_pk_fma_f32 v[0:1], v[18:19], s[4:5], v[0:1] op_sel_hi:[1,0,1]
	;; [unrolled: 1-line block ×4, first 2 shown]
	v_pk_fma_f32 v[6:7], v[22:23], s[30:31], v[6:7] op_sel_hi:[1,0,1] neg_lo:[1,0,0] neg_hi:[1,0,0]
	v_pk_fma_f32 v[2:3], s[22:23], v[24:25], v[2:3] op_sel_hi:[0,1,1] neg_lo:[1,0,0] neg_hi:[1,0,0]
	v_pk_fma_f32 v[0:1], s[22:23], v[22:23], v[0:1] op_sel_hi:[0,1,1] neg_lo:[1,0,0] neg_hi:[1,0,0]
	v_pk_fma_f32 v[4:5], v[36:37], s[30:31], v[4:5] op_sel_hi:[1,0,1]
	s_cbranch_scc0 .LBB16_4
; %bb.5:                                ;   in Loop: Header=BB16_3 Depth=2
	v_add_lshl_u32 v8, s27, v16, 1
	v_ashrrev_i32_e32 v9, 31, v8
	v_lshlrev_b64 v[8:9], 4, v[8:9]
	v_mov_b32_e32 v10, s3
	v_add_co_u32_e32 v22, vcc, s2, v8
	v_addc_co_u32_e32 v23, vcc, v10, v9, vcc
	global_load_dwordx4 v[8:11], v[22:23], off
	global_load_dwordx4 v[18:21], v[22:23], off offset:16
	s_add_i32 s27, s27, 1
	s_add_i32 s26, s26, 1
	s_add_u32 s14, s14, 4
	s_addc_u32 s15, s15, 0
	s_cmp_eq_u32 s27, s8
	v_add_u32_e32 v17, 2, v17
	s_waitcnt vmcnt(1)
	v_pk_add_f32 v[2:3], v[2:3], v[10:11]
	v_pk_add_f32 v[0:1], v[0:1], v[8:9]
	s_waitcnt vmcnt(0)
	v_pk_add_f32 v[8:9], v[4:5], v[20:21]
	v_pk_add_f32 v[6:7], v[6:7], v[18:19]
	global_store_dwordx4 v[22:23], v[0:3], off
	global_store_dwordx4 v[22:23], v[6:9], off offset:16
	s_cbranch_scc0 .LBB16_3
; %bb.6:                                ;   in Loop: Header=BB16_2 Depth=1
	s_add_i32 s25, s25, 1
	s_add_i32 s1, s1, s8
	s_add_u32 s12, s12, s6
	s_addc_u32 s13, s13, s7
	s_cmp_eq_u32 s25, s8
	v_add_u32_e32 v15, s9, v15
	s_cbranch_scc0 .LBB16_2
.LBB16_7:
	s_endpgm
	.section	.rodata,"a",@progbits
	.p2align	6, 0x0
	.amdhsa_kernel _Z17comm_manual_aosoaPK15HIP_vector_typeIfLj2EEPS0_S2_i
		.amdhsa_group_segment_fixed_size 0
		.amdhsa_private_segment_fixed_size 0
		.amdhsa_kernarg_size 288
		.amdhsa_user_sgpr_count 6
		.amdhsa_user_sgpr_private_segment_buffer 1
		.amdhsa_user_sgpr_dispatch_ptr 0
		.amdhsa_user_sgpr_queue_ptr 0
		.amdhsa_user_sgpr_kernarg_segment_ptr 1
		.amdhsa_user_sgpr_dispatch_id 0
		.amdhsa_user_sgpr_flat_scratch_init 0
		.amdhsa_user_sgpr_kernarg_preload_length 0
		.amdhsa_user_sgpr_kernarg_preload_offset 0
		.amdhsa_user_sgpr_private_segment_size 0
		.amdhsa_uses_dynamic_stack 0
		.amdhsa_system_sgpr_private_segment_wavefront_offset 0
		.amdhsa_system_sgpr_workgroup_id_x 1
		.amdhsa_system_sgpr_workgroup_id_y 0
		.amdhsa_system_sgpr_workgroup_id_z 0
		.amdhsa_system_sgpr_workgroup_info 0
		.amdhsa_system_vgpr_workitem_id 0
		.amdhsa_next_free_vgpr 40
		.amdhsa_next_free_sgpr 36
		.amdhsa_accum_offset 40
		.amdhsa_reserve_vcc 1
		.amdhsa_reserve_flat_scratch 0
		.amdhsa_float_round_mode_32 0
		.amdhsa_float_round_mode_16_64 0
		.amdhsa_float_denorm_mode_32 3
		.amdhsa_float_denorm_mode_16_64 3
		.amdhsa_dx10_clamp 1
		.amdhsa_ieee_mode 1
		.amdhsa_fp16_overflow 0
		.amdhsa_tg_split 0
		.amdhsa_exception_fp_ieee_invalid_op 0
		.amdhsa_exception_fp_denorm_src 0
		.amdhsa_exception_fp_ieee_div_zero 0
		.amdhsa_exception_fp_ieee_overflow 0
		.amdhsa_exception_fp_ieee_underflow 0
		.amdhsa_exception_fp_ieee_inexact 0
		.amdhsa_exception_int_div_zero 0
	.end_amdhsa_kernel
	.text
.Lfunc_end16:
	.size	_Z17comm_manual_aosoaPK15HIP_vector_typeIfLj2EEPS0_S2_i, .Lfunc_end16-_Z17comm_manual_aosoaPK15HIP_vector_typeIfLj2EEPS0_S2_i
                                        ; -- End function
	.section	.AMDGPU.csdata,"",@progbits
; Kernel info:
; codeLenInByte = 740
; NumSgprs: 40
; NumVgprs: 40
; NumAgprs: 0
; TotalNumVgprs: 40
; ScratchSize: 0
; MemoryBound: 0
; FloatMode: 240
; IeeeMode: 1
; LDSByteSize: 0 bytes/workgroup (compile time only)
; SGPRBlocks: 4
; VGPRBlocks: 4
; NumSGPRsForWavesPerEU: 40
; NumVGPRsForWavesPerEU: 40
; AccumOffset: 40
; Occupancy: 8
; WaveLimiterHint : 0
; COMPUTE_PGM_RSRC2:SCRATCH_EN: 0
; COMPUTE_PGM_RSRC2:USER_SGPR: 6
; COMPUTE_PGM_RSRC2:TRAP_HANDLER: 0
; COMPUTE_PGM_RSRC2:TGID_X_EN: 1
; COMPUTE_PGM_RSRC2:TGID_Y_EN: 0
; COMPUTE_PGM_RSRC2:TGID_Z_EN: 0
; COMPUTE_PGM_RSRC2:TIDIG_COMP_CNT: 0
; COMPUTE_PGM_RSRC3_GFX90A:ACCUM_OFFSET: 9
; COMPUTE_PGM_RSRC3_GFX90A:TG_SPLIT: 0
	.text
	.protected	_Z27comm_manual_aosoa_constantsPK15HIP_vector_typeIfLj2EEPS0_S2_ ; -- Begin function _Z27comm_manual_aosoa_constantsPK15HIP_vector_typeIfLj2EEPS0_S2_
	.globl	_Z27comm_manual_aosoa_constantsPK15HIP_vector_typeIfLj2EEPS0_S2_
	.p2align	8
	.type	_Z27comm_manual_aosoa_constantsPK15HIP_vector_typeIfLj2EEPS0_S2_,@function
_Z27comm_manual_aosoa_constantsPK15HIP_vector_typeIfLj2EEPS0_S2_: ; @_Z27comm_manual_aosoa_constantsPK15HIP_vector_typeIfLj2EEPS0_S2_
; %bb.0:
	s_load_dword s7, s[4:5], 0x24
	s_load_dwordx4 s[0:3], s[4:5], 0x0
	s_load_dwordx2 s[12:13], s[4:5], 0x10
	s_mov_b32 s15, 0
	s_mov_b32 s33, 0
	s_waitcnt lgkmcnt(0)
	s_and_b32 s4, s7, 0xffff
	s_mul_i32 s6, s6, s4
	v_add_u32_e32 v0, s6, v0
	s_movk_i32 s4, 0x62
	v_mul_lo_u32 v60, v0, s4
	v_ashrrev_i32_e32 v61, 31, v60
	v_lshlrev_b64 v[0:1], 4, v[60:61]
	v_mov_b32_e32 v2, s1
	v_add_co_u32_e32 v0, vcc, s0, v0
	v_addc_co_u32_e32 v1, vcc, v1, v2, vcc
	v_add_co_u32_e32 v62, vcc, 16, v0
	v_addc_co_u32_e32 v63, vcc, 0, v1, vcc
	v_add_u32_e32 v61, 0x54, v60
	v_mov_b32_e32 v78, s1
	s_mov_b32 s71, 0
.LBB17_1:                               ; =>This Loop Header: Depth=1
                                        ;     Child Loop BB17_2 Depth 2
	s_mul_i32 s14, s71, 7
	s_lshl_b64 s[4:5], s[14:15], 2
	s_add_u32 s26, s12, s4
	s_addc_u32 s27, s13, s5
	v_mad_u64_u32 v[0:1], s[4:5], s71, 14, v[60:61]
	v_ashrrev_i32_e32 v1, 31, v0
	v_lshlrev_b64 v[0:1], 4, v[0:1]
	v_add_co_u32_e32 v8, vcc, s0, v0
	v_addc_co_u32_e32 v9, vcc, v78, v1, vcc
	s_lshl_b32 s4, s14, 1
	global_load_dwordx4 v[0:3], v[8:9], off offset:16
	global_load_dwordx4 v[4:7], v[8:9], off
	v_add3_u32 v8, s4, 2, v60
	v_ashrrev_i32_e32 v9, 31, v8
	v_lshlrev_b64 v[8:9], 4, v[8:9]
	v_add_co_u32_e32 v16, vcc, s0, v8
	v_addc_co_u32_e32 v17, vcc, v78, v9, vcc
	global_load_dwordx4 v[8:11], v[16:17], off offset:16
	global_load_dwordx4 v[12:15], v[16:17], off
	v_add3_u32 v16, s4, 4, v60
	v_ashrrev_i32_e32 v17, 31, v16
	v_lshlrev_b64 v[16:17], 4, v[16:17]
	v_add_co_u32_e32 v24, vcc, s0, v16
	v_addc_co_u32_e32 v25, vcc, v78, v17, vcc
	;; [unrolled: 7-line block ×6, first 2 shown]
	global_load_dwordx4 v[48:51], v[56:57], off offset:16
	global_load_dwordx4 v[52:55], v[56:57], off
	s_load_dwordx4 s[4:7], s[26:27], 0x0
	s_load_dwordx2 s[16:17], s[26:27], 0x10
	s_load_dword s20, s[26:27], 0x18
	s_load_dwordx4 s[8:11], s[26:27], 0xc4
	s_mov_b64 s[66:67], 0
	v_mov_b32_e32 v64, v61
	s_waitcnt lgkmcnt(0)
	s_mov_b32 s18, s4
	s_mov_b32 s19, s4
	;; [unrolled: 1-line block ×4, first 2 shown]
	s_load_dword s4, s[26:27], 0xdc
	s_load_dwordx2 s[24:25], s[26:27], 0xd4
	s_mov_b32 s26, s8
	s_mov_b32 s27, s8
	;; [unrolled: 1-line block ×29, first 2 shown]
	s_waitcnt lgkmcnt(0)
	s_mov_b32 s54, s24
	s_mov_b32 s55, s24
	;; [unrolled: 1-line block ×16, first 2 shown]
	v_pk_mov_b32 v[66:67], v[62:63], v[62:63] op_sel:[0,1]
.LBB17_2:                               ;   Parent Loop BB17_1 Depth=1
                                        ; =>  This Inner Loop Header: Depth=2
	global_load_dwordx4 v[56:59], v[66:67], off
	global_load_dwordx4 v[68:71], v[66:67], off offset:-16
	s_add_u32 s68, s12, s66
	s_addc_u32 s69, s13, s67
	s_load_dword s72, s[68:69], 0x0
	s_load_dword s70, s[68:69], 0x1c
	;; [unrolled: 1-line block ×4, first 2 shown]
	s_waitcnt vmcnt(15)
	v_xor_b32_e32 v77, 0x80000000, v3
	v_xor_b32_e32 v76, 0x80000000, v2
	v_ashrrev_i32_e32 v65, 31, v64
	s_add_u32 s66, s66, 4
	s_addc_u32 s67, s67, 0
	s_cmp_lg_u32 s66, 28
	s_waitcnt vmcnt(0)
	v_pk_fma_f32 v[74:75], v[68:69], s[18:19], 0 op_sel_hi:[1,1,0] neg_lo:[1,0,0] neg_hi:[1,0,0]
	s_waitcnt lgkmcnt(0)
	v_pk_fma_f32 v[74:75], v[4:5], s[72:73], v[74:75] op_sel_hi:[1,0,1]
	v_pk_fma_f32 v[74:75], v[56:57], s[26:27], v[74:75]
	v_pk_fma_f32 v[56:57], s[18:19], v[56:57], 0 op_sel_hi:[1,1,0]
	v_xor_b32_e32 v73, 0x80000000, v71
	v_xor_b32_e32 v72, 0x80000000, v70
	v_pk_fma_f32 v[56:57], v[4:5], s[74:75], v[56:57] op_sel_hi:[1,0,1] neg_lo:[1,0,0] neg_hi:[1,0,0]
	v_pk_fma_f32 v[72:73], v[72:73], s[22:23], 0 op_sel_hi:[1,1,0]
	v_pk_fma_f32 v[56:57], v[68:69], s[26:27], v[56:57]
	v_pk_fma_f32 v[72:73], v[6:7], s[72:73], v[72:73] op_sel_hi:[1,0,1]
	v_pk_fma_f32 v[82:83], s[72:73], v[0:1], v[56:57] op_sel_hi:[0,1,1] neg_lo:[1,0,0] neg_hi:[1,0,0]
	v_add_u32_e32 v56, 0xffffffba, v64
	v_pk_fma_f32 v[72:73], v[58:59], s[28:29], v[72:73]
	v_ashrrev_i32_e32 v57, 31, v56
	v_pk_fma_f32 v[76:77], v[76:77], s[74:75], v[72:73] op_sel_hi:[1,0,1]
	v_pk_fma_f32 v[58:59], s[22:23], v[58:59], 0 op_sel_hi:[1,1,0]
	v_xor_b32_e32 v73, 0x80000000, v7
	v_xor_b32_e32 v72, 0x80000000, v6
	v_lshlrev_b64 v[56:57], 4, v[56:57]
	v_pk_fma_f32 v[58:59], v[72:73], s[74:75], v[58:59] op_sel_hi:[1,0,1]
	v_add_co_u32_e32 v68, vcc, s0, v56
	v_mov_b32_e32 v72, s1
	v_pk_fma_f32 v[58:59], v[70:71], s[28:29], v[58:59]
	v_addc_co_u32_e32 v69, vcc, v72, v57, vcc
	v_pk_fma_f32 v[80:81], s[72:73], v[2:3], v[58:59] op_sel_hi:[0,1,1] neg_lo:[1,0,0] neg_hi:[1,0,0]
	global_load_dwordx4 v[56:59], v[68:69], off offset:16
	s_nop 0
	global_load_dwordx4 v[68:71], v[68:69], off
	s_load_dword s72, s[68:69], 0xe0
	v_pk_fma_f32 v[74:75], v[0:1], s[74:75], v[74:75] op_sel_hi:[1,0,1] neg_lo:[1,0,0] neg_hi:[1,0,0]
	s_waitcnt vmcnt(0)
	v_pk_fma_f32 v[74:75], v[68:69], s[30:31], v[74:75] neg_lo:[1,0,0] neg_hi:[1,0,0]
	v_pk_fma_f32 v[74:75], v[12:13], s[70:71], v[74:75] op_sel_hi:[1,0,1]
	v_pk_fma_f32 v[74:75], v[56:57], s[36:37], v[74:75]
	v_pk_fma_f32 v[56:57], s[30:31], v[56:57], v[82:83]
	s_waitcnt lgkmcnt(0)
	v_pk_fma_f32 v[56:57], v[12:13], s[72:73], v[56:57] op_sel_hi:[1,0,1] neg_lo:[1,0,0] neg_hi:[1,0,0]
	v_xor_b32_e32 v85, 0x80000000, v71
	v_xor_b32_e32 v84, 0x80000000, v70
	v_pk_fma_f32 v[56:57], v[68:69], s[36:37], v[56:57]
	v_pk_fma_f32 v[76:77], v[84:85], s[34:35], v[76:77]
	v_pk_fma_f32 v[82:83], s[70:71], v[8:9], v[56:57] op_sel_hi:[0,1,1] neg_lo:[1,0,0] neg_hi:[1,0,0]
	v_subrev_u32_e32 v56, 56, v64
	v_pk_fma_f32 v[76:77], v[14:15], s[70:71], v[76:77] op_sel_hi:[1,0,1]
	v_ashrrev_i32_e32 v57, 31, v56
	v_pk_fma_f32 v[76:77], v[58:59], s[8:9], v[76:77]
	v_pk_fma_f32 v[58:59], s[34:35], v[58:59], v[80:81]
	v_xor_b32_e32 v81, 0x80000000, v15
	v_xor_b32_e32 v80, 0x80000000, v14
	v_lshlrev_b64 v[56:57], 4, v[56:57]
	v_pk_fma_f32 v[58:59], v[80:81], s[72:73], v[58:59] op_sel_hi:[1,0,1]
	v_add_co_u32_e32 v68, vcc, s0, v56
	v_pk_fma_f32 v[58:59], v[70:71], s[8:9], v[58:59]
	v_addc_co_u32_e32 v69, vcc, v72, v57, vcc
	v_pk_fma_f32 v[80:81], s[70:71], v[10:11], v[58:59] op_sel_hi:[0,1,1] neg_lo:[1,0,0] neg_hi:[1,0,0]
	global_load_dwordx4 v[56:59], v[68:69], off offset:16
	s_nop 0
	global_load_dwordx4 v[68:71], v[68:69], off
	s_load_dword s70, s[68:69], 0xfc
	v_pk_fma_f32 v[74:75], v[8:9], s[72:73], v[74:75] op_sel_hi:[1,0,1] neg_lo:[1,0,0] neg_hi:[1,0,0]
	v_xor_b32_e32 v85, 0x80000000, v11
	v_xor_b32_e32 v84, 0x80000000, v10
	v_pk_fma_f32 v[76:77], v[84:85], s[72:73], v[76:77] op_sel_hi:[1,0,1]
	s_waitcnt vmcnt(0)
	v_pk_fma_f32 v[74:75], v[68:69], s[38:39], v[74:75] neg_lo:[1,0,0] neg_hi:[1,0,0]
	v_pk_fma_f32 v[74:75], v[20:21], s[14:15], v[74:75] op_sel_hi:[1,0,1]
	v_pk_fma_f32 v[74:75], v[56:57], s[42:43], v[74:75]
	v_pk_fma_f32 v[56:57], s[38:39], v[56:57], v[82:83]
	s_waitcnt lgkmcnt(0)
	v_pk_fma_f32 v[56:57], v[20:21], s[70:71], v[56:57] op_sel_hi:[1,0,1] neg_lo:[1,0,0] neg_hi:[1,0,0]
	v_xor_b32_e32 v85, 0x80000000, v71
	v_xor_b32_e32 v84, 0x80000000, v70
	v_pk_fma_f32 v[56:57], v[68:69], s[42:43], v[56:57]
	v_pk_fma_f32 v[76:77], v[84:85], s[40:41], v[76:77]
	v_pk_fma_f32 v[82:83], s[14:15], v[16:17], v[56:57] op_sel_hi:[0,1,1] neg_lo:[1,0,0] neg_hi:[1,0,0]
	v_subrev_u32_e32 v56, 42, v64
	v_pk_fma_f32 v[76:77], v[22:23], s[14:15], v[76:77] op_sel_hi:[1,0,1]
	v_ashrrev_i32_e32 v57, 31, v56
	v_pk_fma_f32 v[76:77], v[58:59], s[44:45], v[76:77]
	v_pk_fma_f32 v[58:59], s[40:41], v[58:59], v[80:81]
	v_xor_b32_e32 v81, 0x80000000, v23
	v_xor_b32_e32 v80, 0x80000000, v22
	v_lshlrev_b64 v[56:57], 4, v[56:57]
	v_pk_fma_f32 v[58:59], v[80:81], s[70:71], v[58:59] op_sel_hi:[1,0,1]
	v_add_co_u32_e32 v68, vcc, s0, v56
	v_pk_fma_f32 v[58:59], v[70:71], s[44:45], v[58:59]
	v_addc_co_u32_e32 v69, vcc, v72, v57, vcc
	v_pk_fma_f32 v[80:81], s[14:15], v[18:19], v[58:59] op_sel_hi:[0,1,1] neg_lo:[1,0,0] neg_hi:[1,0,0]
	global_load_dwordx4 v[56:59], v[68:69], off offset:16
	s_nop 0
	global_load_dwordx4 v[68:71], v[68:69], off
	s_load_dword s14, s[68:69], 0x54
	v_xor_b32_e32 v85, 0x80000000, v19
	v_xor_b32_e32 v84, 0x80000000, v18
	v_pk_fma_f32 v[76:77], v[84:85], s[70:71], v[76:77] op_sel_hi:[1,0,1]
	v_pk_fma_f32 v[74:75], v[16:17], s[70:71], v[74:75] op_sel_hi:[1,0,1] neg_lo:[1,0,0] neg_hi:[1,0,0]
	s_load_dword s70, s[68:69], 0x118
	s_waitcnt vmcnt(0)
	v_pk_fma_f32 v[74:75], v[68:69], s[46:47], v[74:75] neg_lo:[1,0,0] neg_hi:[1,0,0]
	s_waitcnt lgkmcnt(0)
	v_pk_fma_f32 v[74:75], v[28:29], s[14:15], v[74:75] op_sel_hi:[1,0,1]
	v_pk_fma_f32 v[74:75], v[56:57], s[48:49], v[74:75]
	v_pk_fma_f32 v[56:57], s[46:47], v[56:57], v[82:83]
	v_pk_fma_f32 v[56:57], v[28:29], s[70:71], v[56:57] op_sel_hi:[1,0,1] neg_lo:[1,0,0] neg_hi:[1,0,0]
	v_xor_b32_e32 v85, 0x80000000, v71
	v_xor_b32_e32 v84, 0x80000000, v70
	v_pk_fma_f32 v[56:57], v[68:69], s[48:49], v[56:57]
	v_pk_fma_f32 v[76:77], v[84:85], s[6:7], v[76:77]
	v_pk_fma_f32 v[82:83], s[14:15], v[24:25], v[56:57] op_sel_hi:[0,1,1] neg_lo:[1,0,0] neg_hi:[1,0,0]
	v_subrev_u32_e32 v56, 28, v64
	v_pk_fma_f32 v[76:77], v[30:31], s[14:15], v[76:77] op_sel_hi:[1,0,1]
	v_ashrrev_i32_e32 v57, 31, v56
	v_pk_fma_f32 v[76:77], v[58:59], s[10:11], v[76:77]
	v_pk_fma_f32 v[58:59], s[6:7], v[58:59], v[80:81]
	v_xor_b32_e32 v81, 0x80000000, v31
	v_xor_b32_e32 v80, 0x80000000, v30
	v_lshlrev_b64 v[56:57], 4, v[56:57]
	v_pk_fma_f32 v[58:59], v[80:81], s[70:71], v[58:59] op_sel_hi:[1,0,1]
	v_add_co_u32_e32 v68, vcc, s0, v56
	v_pk_fma_f32 v[58:59], v[70:71], s[10:11], v[58:59]
	v_addc_co_u32_e32 v69, vcc, v72, v57, vcc
	v_pk_fma_f32 v[80:81], s[14:15], v[26:27], v[58:59] op_sel_hi:[0,1,1] neg_lo:[1,0,0] neg_hi:[1,0,0]
	global_load_dwordx4 v[56:59], v[68:69], off offset:16
	s_nop 0
	global_load_dwordx4 v[68:71], v[68:69], off
	s_load_dword s14, s[68:69], 0x70
	v_xor_b32_e32 v85, 0x80000000, v27
	v_xor_b32_e32 v84, 0x80000000, v26
	v_pk_fma_f32 v[76:77], v[84:85], s[70:71], v[76:77] op_sel_hi:[1,0,1]
	v_pk_fma_f32 v[74:75], v[24:25], s[70:71], v[74:75] op_sel_hi:[1,0,1] neg_lo:[1,0,0] neg_hi:[1,0,0]
	s_load_dword s70, s[68:69], 0x134
	s_waitcnt vmcnt(0)
	v_pk_fma_f32 v[74:75], v[68:69], s[50:51], v[74:75] neg_lo:[1,0,0] neg_hi:[1,0,0]
	s_waitcnt lgkmcnt(0)
	v_pk_fma_f32 v[74:75], v[36:37], s[14:15], v[74:75] op_sel_hi:[1,0,1]
	v_pk_fma_f32 v[74:75], v[56:57], s[54:55], v[74:75]
	v_pk_fma_f32 v[56:57], s[50:51], v[56:57], v[82:83]
	v_pk_fma_f32 v[56:57], v[36:37], s[70:71], v[56:57] op_sel_hi:[1,0,1] neg_lo:[1,0,0] neg_hi:[1,0,0]
	v_xor_b32_e32 v85, 0x80000000, v71
	v_xor_b32_e32 v84, 0x80000000, v70
	v_pk_fma_f32 v[56:57], v[68:69], s[54:55], v[56:57]
	v_pk_fma_f32 v[76:77], v[84:85], s[52:53], v[76:77]
	v_pk_fma_f32 v[82:83], s[14:15], v[32:33], v[56:57] op_sel_hi:[0,1,1] neg_lo:[1,0,0] neg_hi:[1,0,0]
	v_add_u32_e32 v56, -14, v64
	v_pk_fma_f32 v[76:77], v[38:39], s[14:15], v[76:77] op_sel_hi:[1,0,1]
	v_ashrrev_i32_e32 v57, 31, v56
	v_pk_fma_f32 v[76:77], v[58:59], s[56:57], v[76:77]
	v_pk_fma_f32 v[86:87], v[32:33], s[70:71], v[74:75] op_sel_hi:[1,0,1] neg_lo:[1,0,0] neg_hi:[1,0,0]
	v_pk_fma_f32 v[58:59], s[52:53], v[58:59], v[80:81]
	v_xor_b32_e32 v75, 0x80000000, v39
	v_xor_b32_e32 v74, 0x80000000, v38
	v_lshlrev_b64 v[56:57], 4, v[56:57]
	v_pk_fma_f32 v[58:59], v[74:75], s[70:71], v[58:59] op_sel_hi:[1,0,1]
	v_add_co_u32_e32 v68, vcc, s0, v56
	v_xor_b32_e32 v85, 0x80000000, v35
	v_xor_b32_e32 v84, 0x80000000, v34
	v_pk_fma_f32 v[58:59], v[70:71], s[56:57], v[58:59]
	v_addc_co_u32_e32 v69, vcc, v72, v57, vcc
	v_pk_fma_f32 v[84:85], v[84:85], s[70:71], v[76:77] op_sel_hi:[1,0,1]
	v_pk_fma_f32 v[80:81], s[14:15], v[34:35], v[58:59] op_sel_hi:[0,1,1] neg_lo:[1,0,0] neg_hi:[1,0,0]
	global_load_dwordx4 v[56:59], v[68:69], off offset:16
	global_load_dwordx4 v[74:77], v[68:69], off
	s_load_dword s14, s[68:69], 0x8c
	s_load_dword s70, s[68:69], 0x150
	s_waitcnt vmcnt(0)
	v_xor_b32_e32 v69, 0x80000000, v77
	v_xor_b32_e32 v68, 0x80000000, v76
	v_pk_fma_f32 v[68:69], v[68:69], s[58:59], v[84:85]
	v_pk_fma_f32 v[70:71], v[74:75], s[16:17], v[86:87] neg_lo:[1,0,0] neg_hi:[1,0,0]
	s_waitcnt lgkmcnt(0)
	v_pk_fma_f32 v[68:69], v[46:47], s[14:15], v[68:69] op_sel_hi:[1,0,1]
	v_pk_fma_f32 v[70:71], v[44:45], s[14:15], v[70:71] op_sel_hi:[1,0,1]
	v_pk_fma_f32 v[68:69], v[58:59], s[60:61], v[68:69]
	v_pk_fma_f32 v[70:71], v[56:57], s[24:25], v[70:71]
	;; [unrolled: 1-line block ×4, first 2 shown]
	v_xor_b32_e32 v81, 0x80000000, v47
	v_xor_b32_e32 v80, 0x80000000, v46
	v_pk_fma_f32 v[58:59], v[80:81], s[70:71], v[58:59] op_sel_hi:[1,0,1]
	v_pk_fma_f32 v[56:57], v[44:45], s[70:71], v[56:57] op_sel_hi:[1,0,1] neg_lo:[1,0,0] neg_hi:[1,0,0]
	v_pk_fma_f32 v[58:59], v[76:77], s[60:61], v[58:59]
	v_pk_fma_f32 v[74:75], v[74:75], s[24:25], v[56:57]
	v_pk_fma_f32 v[56:57], s[14:15], v[42:43], v[58:59] op_sel_hi:[0,1,1] neg_lo:[1,0,0] neg_hi:[1,0,0]
	v_pk_fma_f32 v[58:59], s[14:15], v[40:41], v[74:75] op_sel_hi:[0,1,1] neg_lo:[1,0,0] neg_hi:[1,0,0]
	v_lshlrev_b64 v[74:75], 4, v[64:65]
	v_add_co_u32_e32 v76, vcc, s0, v74
	v_addc_co_u32_e32 v77, vcc, v72, v75, vcc
	global_load_dwordx4 v[72:75], v[76:77], off offset:16
	global_load_dwordx4 v[80:83], v[76:77], off
	s_load_dword s14, s[68:69], 0xa8
	v_pk_fma_f32 v[70:71], v[40:41], s[70:71], v[70:71] op_sel_hi:[1,0,1] neg_lo:[1,0,0] neg_hi:[1,0,0]
	s_load_dword s68, s[68:69], 0x16c
	v_xor_b32_e32 v85, 0x80000000, v43
	v_xor_b32_e32 v84, 0x80000000, v42
	v_pk_fma_f32 v[68:69], v[84:85], s[70:71], v[68:69] op_sel_hi:[1,0,1]
	s_waitcnt vmcnt(1)
	v_pk_fma_f32 v[56:57], s[62:63], v[74:75], v[56:57]
	s_waitcnt vmcnt(0)
	v_pk_fma_f32 v[70:71], v[80:81], s[20:21], v[70:71] neg_lo:[1,0,0] neg_hi:[1,0,0]
	s_waitcnt lgkmcnt(0)
	v_pk_fma_f32 v[70:71], v[52:53], s[14:15], v[70:71] op_sel_hi:[1,0,1]
	v_pk_fma_f32 v[70:71], v[72:73], s[4:5], v[70:71]
	v_pk_fma_f32 v[58:59], s[20:21], v[72:73], v[58:59]
	v_xor_b32_e32 v73, 0x80000000, v55
	v_xor_b32_e32 v72, 0x80000000, v54
	v_pk_fma_f32 v[56:57], v[72:73], s[68:69], v[56:57] op_sel_hi:[1,0,1]
	v_pk_fma_f32 v[56:57], v[82:83], s[64:65], v[56:57]
	v_xor_b32_e32 v77, 0x80000000, v83
	v_xor_b32_e32 v76, 0x80000000, v82
	v_pk_fma_f32 v[72:73], s[14:15], v[50:51], v[56:57] op_sel_hi:[0,1,1] neg_lo:[1,0,0] neg_hi:[1,0,0]
	v_add_u32_e32 v56, s33, v64
	v_pk_fma_f32 v[68:69], v[76:77], s[62:63], v[68:69]
	v_add_u32_e32 v56, 0xffffffac, v56
	v_pk_fma_f32 v[68:69], v[54:55], s[14:15], v[68:69] op_sel_hi:[1,0,1]
	v_ashrrev_i32_e32 v57, 31, v56
	v_pk_fma_f32 v[68:69], v[74:75], s[64:65], v[68:69]
	v_xor_b32_e32 v77, 0x80000000, v51
	v_xor_b32_e32 v76, 0x80000000, v50
	v_lshlrev_b64 v[56:57], 4, v[56:57]
	v_pk_fma_f32 v[68:69], v[76:77], s[68:69], v[68:69] op_sel_hi:[1,0,1]
	v_pk_fma_f32 v[58:59], v[52:53], s[68:69], v[58:59] op_sel_hi:[1,0,1] neg_lo:[1,0,0] neg_hi:[1,0,0]
	v_add_co_u32_e32 v76, vcc, s2, v56
	v_mov_b32_e32 v56, s3
	v_pk_fma_f32 v[58:59], v[80:81], s[4:5], v[58:59]
	v_addc_co_u32_e32 v77, vcc, v56, v57, vcc
	v_pk_fma_f32 v[74:75], s[14:15], v[48:49], v[58:59] op_sel_hi:[0,1,1] neg_lo:[1,0,0] neg_hi:[1,0,0]
	global_load_dwordx4 v[56:59], v[76:77], off offset:16
	global_load_dwordx4 v[80:83], v[76:77], off
	v_pk_fma_f32 v[70:71], v[48:49], s[68:69], v[70:71] op_sel_hi:[1,0,1] neg_lo:[1,0,0] neg_hi:[1,0,0]
	v_add_co_u32_e32 v66, vcc, 32, v66
	v_addc_co_u32_e32 v67, vcc, 0, v67, vcc
	v_add_u32_e32 v64, 2, v64
	s_waitcnt vmcnt(1)
	v_pk_add_f32 v[58:59], v[68:69], v[58:59]
	s_waitcnt vmcnt(0)
	v_pk_add_f32 v[82:83], v[72:73], v[82:83]
	v_pk_add_f32 v[80:81], v[74:75], v[80:81]
	;; [unrolled: 1-line block ×3, first 2 shown]
	global_store_dwordx4 v[76:77], v[80:83], off
	global_store_dwordx4 v[76:77], v[56:59], off offset:16
	s_cbranch_scc1 .LBB17_2
; %bb.3:                                ;   in Loop: Header=BB17_1 Depth=1
	s_add_i32 s71, s71, 1
	s_add_i32 s33, s33, 14
	s_cmp_eq_u32 s71, 7
	s_cbranch_scc0 .LBB17_1
; %bb.4:
	s_endpgm
	.section	.rodata,"a",@progbits
	.p2align	6, 0x0
	.amdhsa_kernel _Z27comm_manual_aosoa_constantsPK15HIP_vector_typeIfLj2EEPS0_S2_
		.amdhsa_group_segment_fixed_size 0
		.amdhsa_private_segment_fixed_size 0
		.amdhsa_kernarg_size 280
		.amdhsa_user_sgpr_count 6
		.amdhsa_user_sgpr_private_segment_buffer 1
		.amdhsa_user_sgpr_dispatch_ptr 0
		.amdhsa_user_sgpr_queue_ptr 0
		.amdhsa_user_sgpr_kernarg_segment_ptr 1
		.amdhsa_user_sgpr_dispatch_id 0
		.amdhsa_user_sgpr_flat_scratch_init 0
		.amdhsa_user_sgpr_kernarg_preload_length 0
		.amdhsa_user_sgpr_kernarg_preload_offset 0
		.amdhsa_user_sgpr_private_segment_size 0
		.amdhsa_uses_dynamic_stack 0
		.amdhsa_system_sgpr_private_segment_wavefront_offset 0
		.amdhsa_system_sgpr_workgroup_id_x 1
		.amdhsa_system_sgpr_workgroup_id_y 0
		.amdhsa_system_sgpr_workgroup_id_z 0
		.amdhsa_system_sgpr_workgroup_info 0
		.amdhsa_system_vgpr_workitem_id 0
		.amdhsa_next_free_vgpr 88
		.amdhsa_next_free_sgpr 76
		.amdhsa_accum_offset 88
		.amdhsa_reserve_vcc 1
		.amdhsa_reserve_flat_scratch 0
		.amdhsa_float_round_mode_32 0
		.amdhsa_float_round_mode_16_64 0
		.amdhsa_float_denorm_mode_32 3
		.amdhsa_float_denorm_mode_16_64 3
		.amdhsa_dx10_clamp 1
		.amdhsa_ieee_mode 1
		.amdhsa_fp16_overflow 0
		.amdhsa_tg_split 0
		.amdhsa_exception_fp_ieee_invalid_op 0
		.amdhsa_exception_fp_denorm_src 0
		.amdhsa_exception_fp_ieee_div_zero 0
		.amdhsa_exception_fp_ieee_overflow 0
		.amdhsa_exception_fp_ieee_underflow 0
		.amdhsa_exception_fp_ieee_inexact 0
		.amdhsa_exception_int_div_zero 0
	.end_amdhsa_kernel
	.text
.Lfunc_end17:
	.size	_Z27comm_manual_aosoa_constantsPK15HIP_vector_typeIfLj2EEPS0_S2_, .Lfunc_end17-_Z27comm_manual_aosoa_constantsPK15HIP_vector_typeIfLj2EEPS0_S2_
                                        ; -- End function
	.section	.AMDGPU.csdata,"",@progbits
; Kernel info:
; codeLenInByte = 2556
; NumSgprs: 80
; NumVgprs: 88
; NumAgprs: 0
; TotalNumVgprs: 88
; ScratchSize: 0
; MemoryBound: 1
; FloatMode: 240
; IeeeMode: 1
; LDSByteSize: 0 bytes/workgroup (compile time only)
; SGPRBlocks: 9
; VGPRBlocks: 10
; NumSGPRsForWavesPerEU: 80
; NumVGPRsForWavesPerEU: 88
; AccumOffset: 88
; Occupancy: 5
; WaveLimiterHint : 1
; COMPUTE_PGM_RSRC2:SCRATCH_EN: 0
; COMPUTE_PGM_RSRC2:USER_SGPR: 6
; COMPUTE_PGM_RSRC2:TRAP_HANDLER: 0
; COMPUTE_PGM_RSRC2:TGID_X_EN: 1
; COMPUTE_PGM_RSRC2:TGID_Y_EN: 0
; COMPUTE_PGM_RSRC2:TGID_Z_EN: 0
; COMPUTE_PGM_RSRC2:TIDIG_COMP_CNT: 0
; COMPUTE_PGM_RSRC3_GFX90A:ACCUM_OFFSET: 21
; COMPUTE_PGM_RSRC3_GFX90A:TG_SPLIT: 0
	.text
	.protected	_Z32comm_manual_aosoa_constants_permPK15HIP_vector_typeIfLj2EEPS0_S2_ ; -- Begin function _Z32comm_manual_aosoa_constants_permPK15HIP_vector_typeIfLj2EEPS0_S2_
	.globl	_Z32comm_manual_aosoa_constants_permPK15HIP_vector_typeIfLj2EEPS0_S2_
	.p2align	8
	.type	_Z32comm_manual_aosoa_constants_permPK15HIP_vector_typeIfLj2EEPS0_S2_,@function
_Z32comm_manual_aosoa_constants_permPK15HIP_vector_typeIfLj2EEPS0_S2_: ; @_Z32comm_manual_aosoa_constants_permPK15HIP_vector_typeIfLj2EEPS0_S2_
; %bb.0:
	s_load_dword s7, s[4:5], 0x24
	s_load_dwordx4 s[0:3], s[4:5], 0x0
	s_load_dwordx2 s[12:13], s[4:5], 0x10
	s_mov_b32 s23, 0
	s_mov_b64 s[14:15], 0xc4
	s_waitcnt lgkmcnt(0)
	s_and_b32 s4, s7, 0xffff
	s_mul_i32 s6, s6, s4
	v_add_u32_e32 v0, s6, v0
	s_movk_i32 s4, 0x62
	s_add_u32 s21, s0, 16
	v_mul_lo_u32 v64, v0, s4
	s_addc_u32 s4, s1, 0
	v_mov_b32_e32 v65, s4
	v_mov_b32_e32 v88, s3
	;; [unrolled: 1-line block ×3, first 2 shown]
.LBB18_1:                               ; =>This Loop Header: Depth=1
                                        ;     Child Loop BB18_2 Depth 2
	v_mad_u64_u32 v[0:1], s[4:5], s23, 14, v[64:65]
	v_ashrrev_i32_e32 v1, 31, v0
	v_lshlrev_b64 v[2:3], 4, v[0:1]
	v_add_co_u32_e32 v68, vcc, s2, v2
	v_add_u32_e32 v2, 2, v0
	v_addc_co_u32_e32 v69, vcc, v88, v3, vcc
	v_ashrrev_i32_e32 v3, 31, v2
	v_lshlrev_b64 v[2:3], 4, v[2:3]
	v_add_co_u32_e32 v70, vcc, s2, v2
	v_add_u32_e32 v2, 4, v0
	v_addc_co_u32_e32 v71, vcc, v88, v3, vcc
	;; [unrolled: 5-line block ×5, first 2 shown]
	v_ashrrev_i32_e32 v3, 31, v2
	v_lshlrev_b64 v[2:3], 4, v[2:3]
	v_add_u32_e32 v0, 12, v0
	v_add_co_u32_e32 v78, vcc, s2, v2
	v_ashrrev_i32_e32 v1, 31, v0
	v_addc_co_u32_e32 v79, vcc, v88, v3, vcc
	v_lshlrev_b64 v[0:1], 4, v[0:1]
	v_add_co_u32_e32 v80, vcc, s2, v0
	v_addc_co_u32_e32 v81, vcc, v88, v1, vcc
	global_load_dwordx4 v[8:11], v[68:69], off offset:16
	global_load_dwordx4 v[0:3], v[68:69], off
	global_load_dwordx4 v[4:7], v[70:71], off offset:16
	global_load_dwordx4 v[12:15], v[70:71], off
	;; [unrolled: 2-line block ×7, first 2 shown]
	v_ashrrev_i32_e32 v67, 31, v66
	v_lshlrev_b64 v[56:57], 4, v[66:67]
	v_add_co_u32_e32 v82, vcc, s21, v56
	v_addc_co_u32_e32 v83, vcc, v65, v57, vcc
	s_mov_b64 s[16:17], 0
	v_mov_b32_e32 v84, v64
	s_mov_b64 s[18:19], s[14:15]
.LBB18_2:                               ;   Parent Loop BB18_1 Depth=1
                                        ; =>  This Inner Loop Header: Depth=2
	s_add_u32 s4, s12, s18
	v_ashrrev_i32_e32 v85, 31, v84
	s_addc_u32 s5, s13, s19
	v_lshlrev_b64 v[86:87], 4, v[84:85]
	s_add_u32 s6, s4, 0xffffff3c
	v_add_co_u32_e32 v86, vcc, s0, v86
	v_mov_b32_e32 v67, s1
	s_addc_u32 s7, s5, -1
	v_addc_co_u32_e32 v87, vcc, v67, v87, vcc
	s_load_dword s22, s[6:7], 0x0
	s_load_dword s20, s[4:5], 0x0
	global_load_dwordx4 v[56:59], v[82:83], off
	global_load_dwordx4 v[60:63], v[82:83], off offset:-16
	global_load_dwordx4 v[90:93], v[86:87], off offset:16
	global_load_dwordx4 v[94:97], v[86:87], off
	s_add_u32 s8, s12, s16
	s_addc_u32 s9, s13, s17
	s_load_dwordx4 s[4:7], s[8:9], 0x0
	s_load_dwordx2 s[28:29], s[8:9], 0x10
	s_load_dword s24, s[8:9], 0x18
	s_load_dword s26, s[8:9], 0xdc
	s_load_dwordx2 s[30:31], s[8:9], 0xd4
	s_nop 0
	s_load_dwordx4 s[8:11], s[8:9], 0xc4
	s_add_u32 s18, s18, 4
	s_addc_u32 s19, s19, 0
	s_add_u32 s16, s16, 28
	s_addc_u32 s17, s17, 0
	s_cmpk_eq_i32 s16, 0xc4
	s_waitcnt vmcnt(3)
	v_xor_b32_e32 v59, 0x80000000, v59
	s_waitcnt vmcnt(1) lgkmcnt(0)
	v_pk_fma_f32 v[0:1], s[22:23], v[90:91], v[0:1] op_sel_hi:[0,1,1]
	s_waitcnt vmcnt(0)
	v_pk_fma_f32 v[8:9], s[22:23], v[94:95], v[8:9] op_sel_hi:[0,1,1] neg_lo:[1,0,0] neg_hi:[1,0,0]
	v_pk_fma_f32 v[8:9], v[60:61], s[4:5], v[8:9] op_sel_hi:[1,0,1]
	v_pk_fma_f32 v[8:9], s[20:21], v[90:91], v[8:9] op_sel_hi:[0,1,1]
	v_add_u32_e32 v90, 2, v84
	v_ashrrev_i32_e32 v91, 31, v90
	v_pk_fma_f32 v[0:1], v[60:61], s[8:9], v[0:1] op_sel_hi:[1,0,1] neg_lo:[1,0,0] neg_hi:[1,0,0]
	v_lshlrev_b64 v[90:91], 4, v[90:91]
	v_pk_fma_f32 v[10:11], s[22:23], v[96:97], v[10:11] op_sel_hi:[0,1,1] neg_lo:[1,0,0] neg_hi:[1,0,0]
	v_pk_fma_f32 v[2:3], s[22:23], v[92:93], v[2:3] op_sel_hi:[0,1,1]
	v_xor_b32_e32 v87, 0x80000000, v63
	v_xor_b32_e32 v86, 0x80000000, v62
	v_pk_fma_f32 v[0:1], s[20:21], v[94:95], v[0:1] op_sel_hi:[0,1,1]
	v_add_co_u32_e32 v94, vcc, s0, v90
	v_pk_fma_f32 v[10:11], v[62:63], s[4:5], v[10:11] op_sel_hi:[1,0,1]
	v_pk_fma_f32 v[2:3], v[86:87], s[8:9], v[2:3] op_sel_hi:[1,0,1]
	v_addc_co_u32_e32 v95, vcc, v67, v91, vcc
	v_pk_fma_f32 v[10:11], s[20:21], v[92:93], v[10:11] op_sel_hi:[0,1,1]
	v_pk_fma_f32 v[2:3], s[20:21], v[96:97], v[2:3] op_sel_hi:[0,1,1]
	global_load_dwordx4 v[90:93], v[94:95], off offset:16
	s_nop 0
	global_load_dwordx4 v[94:97], v[94:95], off
	v_xor_b32_e32 v58, 0x80000000, v58
	v_pk_fma_f32 v[2:3], v[58:59], s[4:5], v[2:3] op_sel_hi:[1,0,1]
	v_pk_fma_f32 v[0:1], v[56:57], s[4:5], v[0:1] op_sel_hi:[1,0,1] neg_lo:[1,0,0] neg_hi:[1,0,0]
	v_pk_fma_f32 v[10:11], v[58:59], s[8:9], v[10:11] op_sel_hi:[1,0,1]
	v_pk_fma_f32 v[8:9], v[56:57], s[8:9], v[8:9] op_sel_hi:[1,0,1] neg_lo:[1,0,0] neg_hi:[1,0,0]
	s_waitcnt vmcnt(1)
	v_pk_fma_f32 v[12:13], s[22:23], v[90:91], v[12:13] op_sel_hi:[0,1,1]
	s_waitcnt vmcnt(0)
	v_pk_fma_f32 v[4:5], s[22:23], v[94:95], v[4:5] op_sel_hi:[0,1,1] neg_lo:[1,0,0] neg_hi:[1,0,0]
	v_pk_fma_f32 v[4:5], v[60:61], s[4:5], v[4:5] op_sel:[0,1,0]
	v_pk_fma_f32 v[4:5], s[20:21], v[90:91], v[4:5] op_sel_hi:[0,1,1]
	v_add_u32_e32 v90, 4, v84
	v_ashrrev_i32_e32 v91, 31, v90
	v_pk_fma_f32 v[12:13], v[60:61], s[8:9], v[12:13] op_sel:[0,1,0] neg_lo:[1,0,0] neg_hi:[1,0,0]
	v_lshlrev_b64 v[90:91], 4, v[90:91]
	v_pk_fma_f32 v[6:7], s[22:23], v[96:97], v[6:7] op_sel_hi:[0,1,1] neg_lo:[1,0,0] neg_hi:[1,0,0]
	v_pk_fma_f32 v[14:15], s[22:23], v[92:93], v[14:15] op_sel_hi:[0,1,1]
	v_pk_fma_f32 v[12:13], s[20:21], v[94:95], v[12:13] op_sel_hi:[0,1,1]
	v_add_co_u32_e32 v94, vcc, s0, v90
	v_pk_fma_f32 v[6:7], v[62:63], s[4:5], v[6:7] op_sel:[0,1,0]
	v_pk_fma_f32 v[14:15], v[86:87], s[8:9], v[14:15] op_sel:[0,1,0]
	v_addc_co_u32_e32 v95, vcc, v67, v91, vcc
	v_pk_fma_f32 v[6:7], s[20:21], v[92:93], v[6:7] op_sel_hi:[0,1,1]
	v_pk_fma_f32 v[14:15], s[20:21], v[96:97], v[14:15] op_sel_hi:[0,1,1]
	global_load_dwordx4 v[90:93], v[94:95], off offset:16
	s_nop 0
	global_load_dwordx4 v[94:97], v[94:95], off
	v_pk_fma_f32 v[14:15], v[58:59], s[4:5], v[14:15] op_sel:[0,1,0]
	v_pk_fma_f32 v[12:13], v[56:57], s[4:5], v[12:13] op_sel:[0,1,0] neg_lo:[1,0,0] neg_hi:[1,0,0]
	s_mov_b32 s4, s7
	v_pk_fma_f32 v[6:7], v[58:59], s[8:9], v[6:7] op_sel:[0,1,0]
	v_pk_fma_f32 v[4:5], v[56:57], s[8:9], v[4:5] op_sel:[0,1,0] neg_lo:[1,0,0] neg_hi:[1,0,0]
	s_waitcnt vmcnt(1)
	v_pk_fma_f32 v[20:21], s[22:23], v[90:91], v[20:21] op_sel_hi:[0,1,1]
	s_waitcnt vmcnt(0)
	v_pk_fma_f32 v[16:17], s[22:23], v[94:95], v[16:17] op_sel_hi:[0,1,1] neg_lo:[1,0,0] neg_hi:[1,0,0]
	v_pk_fma_f32 v[16:17], v[60:61], s[6:7], v[16:17] op_sel_hi:[1,0,1]
	v_pk_fma_f32 v[16:17], s[20:21], v[90:91], v[16:17] op_sel_hi:[0,1,1]
	v_add_u32_e32 v90, 6, v84
	v_ashrrev_i32_e32 v91, 31, v90
	v_pk_fma_f32 v[20:21], v[60:61], s[10:11], v[20:21] op_sel_hi:[1,0,1] neg_lo:[1,0,0] neg_hi:[1,0,0]
	v_lshlrev_b64 v[90:91], 4, v[90:91]
	v_pk_fma_f32 v[18:19], s[22:23], v[96:97], v[18:19] op_sel_hi:[0,1,1] neg_lo:[1,0,0] neg_hi:[1,0,0]
	v_pk_fma_f32 v[22:23], s[22:23], v[92:93], v[22:23] op_sel_hi:[0,1,1]
	v_pk_fma_f32 v[20:21], s[20:21], v[94:95], v[20:21] op_sel_hi:[0,1,1]
	v_add_co_u32_e32 v94, vcc, s0, v90
	v_pk_fma_f32 v[18:19], v[62:63], s[6:7], v[18:19] op_sel_hi:[1,0,1]
	v_pk_fma_f32 v[22:23], v[86:87], s[10:11], v[22:23] op_sel_hi:[1,0,1]
	v_addc_co_u32_e32 v95, vcc, v67, v91, vcc
	v_pk_fma_f32 v[18:19], s[20:21], v[92:93], v[18:19] op_sel_hi:[0,1,1]
	v_pk_fma_f32 v[22:23], s[20:21], v[96:97], v[22:23] op_sel_hi:[0,1,1]
	global_load_dwordx4 v[90:93], v[94:95], off offset:16
	s_nop 0
	global_load_dwordx4 v[94:97], v[94:95], off
	v_pk_fma_f32 v[22:23], v[58:59], s[6:7], v[22:23] op_sel_hi:[1,0,1]
	v_pk_fma_f32 v[20:21], v[56:57], s[6:7], v[20:21] op_sel_hi:[1,0,1] neg_lo:[1,0,0] neg_hi:[1,0,0]
	s_mov_b32 s6, s11
	v_pk_fma_f32 v[18:19], v[58:59], s[10:11], v[18:19] op_sel_hi:[1,0,1]
	v_pk_fma_f32 v[16:17], v[56:57], s[10:11], v[16:17] op_sel_hi:[1,0,1] neg_lo:[1,0,0] neg_hi:[1,0,0]
	s_waitcnt vmcnt(1)
	v_pk_fma_f32 v[28:29], s[22:23], v[90:91], v[28:29] op_sel_hi:[0,1,1]
	s_waitcnt vmcnt(0)
	v_pk_fma_f32 v[24:25], s[22:23], v[94:95], v[24:25] op_sel_hi:[0,1,1] neg_lo:[1,0,0] neg_hi:[1,0,0]
	v_pk_fma_f32 v[24:25], v[60:61], s[4:5], v[24:25] op_sel_hi:[1,0,1]
	v_pk_fma_f32 v[24:25], s[20:21], v[90:91], v[24:25] op_sel_hi:[0,1,1]
	v_add_u32_e32 v90, 8, v84
	v_ashrrev_i32_e32 v91, 31, v90
	v_pk_fma_f32 v[28:29], v[60:61], s[6:7], v[28:29] op_sel_hi:[1,0,1] neg_lo:[1,0,0] neg_hi:[1,0,0]
	v_lshlrev_b64 v[90:91], 4, v[90:91]
	v_pk_fma_f32 v[26:27], s[22:23], v[96:97], v[26:27] op_sel_hi:[0,1,1] neg_lo:[1,0,0] neg_hi:[1,0,0]
	v_pk_fma_f32 v[30:31], s[22:23], v[92:93], v[30:31] op_sel_hi:[0,1,1]
	v_pk_fma_f32 v[28:29], s[20:21], v[94:95], v[28:29] op_sel_hi:[0,1,1]
	v_add_co_u32_e32 v94, vcc, s0, v90
	v_pk_fma_f32 v[26:27], v[62:63], s[4:5], v[26:27] op_sel_hi:[1,0,1]
	v_pk_fma_f32 v[30:31], v[86:87], s[6:7], v[30:31] op_sel_hi:[1,0,1]
	v_addc_co_u32_e32 v95, vcc, v67, v91, vcc
	v_pk_fma_f32 v[26:27], s[20:21], v[92:93], v[26:27] op_sel_hi:[0,1,1]
	v_pk_fma_f32 v[30:31], s[20:21], v[96:97], v[30:31] op_sel_hi:[0,1,1]
	global_load_dwordx4 v[90:93], v[94:95], off offset:16
	s_nop 0
	global_load_dwordx4 v[94:97], v[94:95], off
	v_pk_fma_f32 v[26:27], v[58:59], s[6:7], v[26:27] op_sel_hi:[1,0,1]
	v_pk_fma_f32 v[24:25], v[56:57], s[6:7], v[24:25] op_sel_hi:[1,0,1] neg_lo:[1,0,0] neg_hi:[1,0,0]
	v_pk_fma_f32 v[30:31], v[58:59], s[4:5], v[30:31] op_sel_hi:[1,0,1]
	v_pk_fma_f32 v[28:29], v[56:57], s[4:5], v[28:29] op_sel_hi:[1,0,1] neg_lo:[1,0,0] neg_hi:[1,0,0]
	s_waitcnt vmcnt(1)
	v_pk_fma_f32 v[52:53], s[22:23], v[90:91], v[52:53] op_sel_hi:[0,1,1]
	s_waitcnt vmcnt(0)
	v_pk_fma_f32 v[40:41], s[22:23], v[94:95], v[40:41] op_sel_hi:[0,1,1] neg_lo:[1,0,0] neg_hi:[1,0,0]
	v_pk_fma_f32 v[40:41], v[60:61], s[28:29], v[40:41] op_sel_hi:[1,0,1]
	v_pk_fma_f32 v[40:41], s[20:21], v[90:91], v[40:41] op_sel_hi:[0,1,1]
	v_add_u32_e32 v90, 10, v84
	v_ashrrev_i32_e32 v91, 31, v90
	v_pk_fma_f32 v[52:53], v[60:61], s[30:31], v[52:53] op_sel_hi:[1,0,1] neg_lo:[1,0,0] neg_hi:[1,0,0]
	v_lshlrev_b64 v[90:91], 4, v[90:91]
	v_pk_fma_f32 v[42:43], s[22:23], v[96:97], v[42:43] op_sel_hi:[0,1,1] neg_lo:[1,0,0] neg_hi:[1,0,0]
	v_pk_fma_f32 v[54:55], s[22:23], v[92:93], v[54:55] op_sel_hi:[0,1,1]
	v_pk_fma_f32 v[52:53], s[20:21], v[94:95], v[52:53] op_sel_hi:[0,1,1]
	v_add_co_u32_e32 v94, vcc, s0, v90
	v_pk_fma_f32 v[42:43], v[62:63], s[28:29], v[42:43] op_sel_hi:[1,0,1]
	v_pk_fma_f32 v[54:55], v[86:87], s[30:31], v[54:55] op_sel_hi:[1,0,1]
	v_addc_co_u32_e32 v95, vcc, v67, v91, vcc
	v_pk_fma_f32 v[42:43], s[20:21], v[92:93], v[42:43] op_sel_hi:[0,1,1]
	v_pk_fma_f32 v[54:55], s[20:21], v[96:97], v[54:55] op_sel_hi:[0,1,1]
	global_load_dwordx4 v[90:93], v[94:95], off offset:16
	s_nop 0
	global_load_dwordx4 v[94:97], v[94:95], off
	v_pk_fma_f32 v[42:43], v[58:59], s[30:31], v[42:43] op_sel_hi:[1,0,1]
	v_pk_fma_f32 v[40:41], v[56:57], s[30:31], v[40:41] op_sel_hi:[1,0,1] neg_lo:[1,0,0] neg_hi:[1,0,0]
	v_pk_fma_f32 v[54:55], v[58:59], s[28:29], v[54:55] op_sel_hi:[1,0,1]
	v_pk_fma_f32 v[52:53], v[56:57], s[28:29], v[52:53] op_sel_hi:[1,0,1] neg_lo:[1,0,0] neg_hi:[1,0,0]
	s_waitcnt vmcnt(1)
	v_pk_fma_f32 v[48:49], s[22:23], v[90:91], v[48:49] op_sel_hi:[0,1,1]
	s_waitcnt vmcnt(0)
	v_pk_fma_f32 v[36:37], s[22:23], v[94:95], v[36:37] op_sel_hi:[0,1,1] neg_lo:[1,0,0] neg_hi:[1,0,0]
	v_pk_fma_f32 v[36:37], v[60:61], s[28:29], v[36:37] op_sel:[0,1,0]
	v_pk_fma_f32 v[36:37], s[20:21], v[90:91], v[36:37] op_sel_hi:[0,1,1]
	v_add_u32_e32 v90, 12, v84
	v_ashrrev_i32_e32 v91, 31, v90
	v_pk_fma_f32 v[48:49], v[60:61], s[30:31], v[48:49] op_sel:[0,1,0] neg_lo:[1,0,0] neg_hi:[1,0,0]
	v_lshlrev_b64 v[90:91], 4, v[90:91]
	v_pk_fma_f32 v[38:39], s[22:23], v[96:97], v[38:39] op_sel_hi:[0,1,1] neg_lo:[1,0,0] neg_hi:[1,0,0]
	v_pk_fma_f32 v[50:51], s[22:23], v[92:93], v[50:51] op_sel_hi:[0,1,1]
	v_pk_fma_f32 v[48:49], s[20:21], v[94:95], v[48:49] op_sel_hi:[0,1,1]
	v_add_co_u32_e32 v94, vcc, s0, v90
	v_pk_fma_f32 v[38:39], v[62:63], s[28:29], v[38:39] op_sel:[0,1,0]
	v_pk_fma_f32 v[50:51], v[86:87], s[30:31], v[50:51] op_sel:[0,1,0]
	v_addc_co_u32_e32 v95, vcc, v67, v91, vcc
	v_pk_fma_f32 v[38:39], s[20:21], v[92:93], v[38:39] op_sel_hi:[0,1,1]
	v_pk_fma_f32 v[50:51], s[20:21], v[96:97], v[50:51] op_sel_hi:[0,1,1]
	global_load_dwordx4 v[90:93], v[94:95], off offset:16
	s_nop 0
	global_load_dwordx4 v[94:97], v[94:95], off
	v_add_co_u32_e32 v82, vcc, 32, v82
	v_pk_fma_f32 v[38:39], v[58:59], s[30:31], v[38:39] op_sel:[0,1,0]
	v_pk_fma_f32 v[36:37], v[56:57], s[30:31], v[36:37] op_sel:[0,1,0] neg_lo:[1,0,0] neg_hi:[1,0,0]
	v_pk_fma_f32 v[50:51], v[58:59], s[28:29], v[50:51] op_sel:[0,1,0]
	v_pk_fma_f32 v[48:49], v[56:57], s[28:29], v[48:49] op_sel:[0,1,0] neg_lo:[1,0,0] neg_hi:[1,0,0]
	v_add_u32_e32 v84, 14, v84
	v_addc_co_u32_e32 v83, vcc, 0, v83, vcc
	s_waitcnt vmcnt(1)
	v_pk_fma_f32 v[46:47], s[22:23], v[92:93], v[46:47] op_sel_hi:[0,1,1]
	s_waitcnt vmcnt(0)
	v_pk_fma_f32 v[34:35], s[22:23], v[96:97], v[34:35] op_sel_hi:[0,1,1] neg_lo:[1,0,0] neg_hi:[1,0,0]
	v_pk_fma_f32 v[32:33], s[22:23], v[94:95], v[32:33] op_sel_hi:[0,1,1] neg_lo:[1,0,0] neg_hi:[1,0,0]
	v_pk_fma_f32 v[44:45], s[22:23], v[90:91], v[44:45] op_sel_hi:[0,1,1]
	v_pk_fma_f32 v[34:35], v[62:63], s[24:25], v[34:35] op_sel_hi:[1,0,1]
	;; [unrolled: 1-line block ×4, first 2 shown]
	v_pk_fma_f32 v[44:45], v[60:61], s[26:27], v[44:45] op_sel_hi:[1,0,1] neg_lo:[1,0,0] neg_hi:[1,0,0]
	v_pk_fma_f32 v[34:35], s[20:21], v[92:93], v[34:35] op_sel_hi:[0,1,1]
	v_pk_fma_f32 v[32:33], s[20:21], v[90:91], v[32:33] op_sel_hi:[0,1,1]
	v_pk_fma_f32 v[46:47], s[20:21], v[96:97], v[46:47] op_sel_hi:[0,1,1]
	v_pk_fma_f32 v[44:45], s[20:21], v[94:95], v[44:45] op_sel_hi:[0,1,1]
	v_pk_fma_f32 v[34:35], v[58:59], s[26:27], v[34:35] op_sel_hi:[1,0,1]
	v_pk_fma_f32 v[32:33], v[56:57], s[26:27], v[32:33] op_sel_hi:[1,0,1] neg_lo:[1,0,0] neg_hi:[1,0,0]
	v_pk_fma_f32 v[46:47], v[58:59], s[24:25], v[46:47] op_sel_hi:[1,0,1]
	v_pk_fma_f32 v[44:45], v[56:57], s[24:25], v[44:45] op_sel_hi:[1,0,1] neg_lo:[1,0,0] neg_hi:[1,0,0]
	s_cbranch_scc0 .LBB18_2
; %bb.3:                                ;   in Loop: Header=BB18_1 Depth=1
	s_add_i32 s23, s23, 1
	s_add_u32 s14, s14, 28
	s_addc_u32 s15, s15, 0
	s_cmp_eq_u32 s23, 7
	v_add_u32_e32 v66, 14, v66
	global_store_dwordx4 v[68:69], v[0:3], off
	global_store_dwordx4 v[68:69], v[8:11], off offset:16
	global_store_dwordx4 v[70:71], v[12:15], off
	global_store_dwordx4 v[70:71], v[4:7], off offset:16
	;; [unrolled: 2-line block ×7, first 2 shown]
	s_cbranch_scc0 .LBB18_1
; %bb.4:
	s_endpgm
	.section	.rodata,"a",@progbits
	.p2align	6, 0x0
	.amdhsa_kernel _Z32comm_manual_aosoa_constants_permPK15HIP_vector_typeIfLj2EEPS0_S2_
		.amdhsa_group_segment_fixed_size 0
		.amdhsa_private_segment_fixed_size 0
		.amdhsa_kernarg_size 280
		.amdhsa_user_sgpr_count 6
		.amdhsa_user_sgpr_private_segment_buffer 1
		.amdhsa_user_sgpr_dispatch_ptr 0
		.amdhsa_user_sgpr_queue_ptr 0
		.amdhsa_user_sgpr_kernarg_segment_ptr 1
		.amdhsa_user_sgpr_dispatch_id 0
		.amdhsa_user_sgpr_flat_scratch_init 0
		.amdhsa_user_sgpr_kernarg_preload_length 0
		.amdhsa_user_sgpr_kernarg_preload_offset 0
		.amdhsa_user_sgpr_private_segment_size 0
		.amdhsa_uses_dynamic_stack 0
		.amdhsa_system_sgpr_private_segment_wavefront_offset 0
		.amdhsa_system_sgpr_workgroup_id_x 1
		.amdhsa_system_sgpr_workgroup_id_y 0
		.amdhsa_system_sgpr_workgroup_id_z 0
		.amdhsa_system_sgpr_workgroup_info 0
		.amdhsa_system_vgpr_workitem_id 0
		.amdhsa_next_free_vgpr 98
		.amdhsa_next_free_sgpr 32
		.amdhsa_accum_offset 100
		.amdhsa_reserve_vcc 1
		.amdhsa_reserve_flat_scratch 0
		.amdhsa_float_round_mode_32 0
		.amdhsa_float_round_mode_16_64 0
		.amdhsa_float_denorm_mode_32 3
		.amdhsa_float_denorm_mode_16_64 3
		.amdhsa_dx10_clamp 1
		.amdhsa_ieee_mode 1
		.amdhsa_fp16_overflow 0
		.amdhsa_tg_split 0
		.amdhsa_exception_fp_ieee_invalid_op 0
		.amdhsa_exception_fp_denorm_src 0
		.amdhsa_exception_fp_ieee_div_zero 0
		.amdhsa_exception_fp_ieee_overflow 0
		.amdhsa_exception_fp_ieee_underflow 0
		.amdhsa_exception_fp_ieee_inexact 0
		.amdhsa_exception_int_div_zero 0
	.end_amdhsa_kernel
	.text
.Lfunc_end18:
	.size	_Z32comm_manual_aosoa_constants_permPK15HIP_vector_typeIfLj2EEPS0_S2_, .Lfunc_end18-_Z32comm_manual_aosoa_constants_permPK15HIP_vector_typeIfLj2EEPS0_S2_
                                        ; -- End function
	.section	.AMDGPU.csdata,"",@progbits
; Kernel info:
; codeLenInByte = 1992
; NumSgprs: 36
; NumVgprs: 98
; NumAgprs: 0
; TotalNumVgprs: 98
; ScratchSize: 0
; MemoryBound: 1
; FloatMode: 240
; IeeeMode: 1
; LDSByteSize: 0 bytes/workgroup (compile time only)
; SGPRBlocks: 4
; VGPRBlocks: 12
; NumSGPRsForWavesPerEU: 36
; NumVGPRsForWavesPerEU: 98
; AccumOffset: 100
; Occupancy: 4
; WaveLimiterHint : 1
; COMPUTE_PGM_RSRC2:SCRATCH_EN: 0
; COMPUTE_PGM_RSRC2:USER_SGPR: 6
; COMPUTE_PGM_RSRC2:TRAP_HANDLER: 0
; COMPUTE_PGM_RSRC2:TGID_X_EN: 1
; COMPUTE_PGM_RSRC2:TGID_Y_EN: 0
; COMPUTE_PGM_RSRC2:TGID_Z_EN: 0
; COMPUTE_PGM_RSRC2:TIDIG_COMP_CNT: 0
; COMPUTE_PGM_RSRC3_GFX90A:ACCUM_OFFSET: 24
; COMPUTE_PGM_RSRC3_GFX90A:TG_SPLIT: 0
	.text
	.protected	_Z41comm_manual_aosoa_constants_perm_prefetchPK15HIP_vector_typeIfLj2EEPS0_S2_ ; -- Begin function _Z41comm_manual_aosoa_constants_perm_prefetchPK15HIP_vector_typeIfLj2EEPS0_S2_
	.globl	_Z41comm_manual_aosoa_constants_perm_prefetchPK15HIP_vector_typeIfLj2EEPS0_S2_
	.p2align	8
	.type	_Z41comm_manual_aosoa_constants_perm_prefetchPK15HIP_vector_typeIfLj2EEPS0_S2_,@function
_Z41comm_manual_aosoa_constants_perm_prefetchPK15HIP_vector_typeIfLj2EEPS0_S2_: ; @_Z41comm_manual_aosoa_constants_perm_prefetchPK15HIP_vector_typeIfLj2EEPS0_S2_
; %bb.0:
	s_load_dword s7, s[4:5], 0x24
	s_load_dwordx4 s[0:3], s[4:5], 0x0
	s_load_dwordx2 s[12:13], s[4:5], 0x10
	s_mov_b32 s15, 0
	s_mov_b32 s33, 0
	s_waitcnt lgkmcnt(0)
	s_and_b32 s4, s7, 0xffff
	s_mul_i32 s6, s6, s4
	v_add_u32_e32 v0, s6, v0
	s_movk_i32 s4, 0x62
	v_mul_lo_u32 v60, v0, s4
	v_ashrrev_i32_e32 v61, 31, v60
	v_lshlrev_b64 v[0:1], 4, v[60:61]
	v_mov_b32_e32 v2, s1
	v_add_co_u32_e32 v0, vcc, s0, v0
	v_addc_co_u32_e32 v1, vcc, v1, v2, vcc
	v_add_co_u32_e32 v62, vcc, 16, v0
	v_addc_co_u32_e32 v63, vcc, 0, v1, vcc
	v_add_u32_e32 v61, 0x54, v60
	v_mov_b32_e32 v78, s1
	s_mov_b32 s71, 0
.LBB19_1:                               ; =>This Loop Header: Depth=1
                                        ;     Child Loop BB19_2 Depth 2
	s_mul_i32 s14, s71, 7
	s_lshl_b64 s[4:5], s[14:15], 2
	s_add_u32 s26, s12, s4
	s_addc_u32 s27, s13, s5
	v_mad_u64_u32 v[0:1], s[4:5], s71, 14, v[60:61]
	v_ashrrev_i32_e32 v1, 31, v0
	v_lshlrev_b64 v[0:1], 4, v[0:1]
	v_add_co_u32_e32 v8, vcc, s0, v0
	v_addc_co_u32_e32 v9, vcc, v78, v1, vcc
	s_lshl_b32 s4, s14, 1
	global_load_dwordx4 v[0:3], v[8:9], off offset:16
	global_load_dwordx4 v[4:7], v[8:9], off
	v_add3_u32 v8, s4, 2, v60
	v_ashrrev_i32_e32 v9, 31, v8
	v_lshlrev_b64 v[8:9], 4, v[8:9]
	v_add_co_u32_e32 v16, vcc, s0, v8
	v_addc_co_u32_e32 v17, vcc, v78, v9, vcc
	global_load_dwordx4 v[8:11], v[16:17], off offset:16
	global_load_dwordx4 v[12:15], v[16:17], off
	v_add3_u32 v16, s4, 4, v60
	v_ashrrev_i32_e32 v17, 31, v16
	v_lshlrev_b64 v[16:17], 4, v[16:17]
	v_add_co_u32_e32 v24, vcc, s0, v16
	v_addc_co_u32_e32 v25, vcc, v78, v17, vcc
	global_load_dwordx4 v[16:19], v[24:25], off offset:16
	global_load_dwordx4 v[20:23], v[24:25], off
	v_add3_u32 v24, s4, 6, v60
	v_ashrrev_i32_e32 v25, 31, v24
	v_lshlrev_b64 v[24:25], 4, v[24:25]
	v_add_co_u32_e32 v32, vcc, s0, v24
	v_addc_co_u32_e32 v33, vcc, v78, v25, vcc
	global_load_dwordx4 v[24:27], v[32:33], off offset:16
	global_load_dwordx4 v[28:31], v[32:33], off
	v_add3_u32 v32, s4, 8, v60
	v_ashrrev_i32_e32 v33, 31, v32
	v_lshlrev_b64 v[32:33], 4, v[32:33]
	v_add_co_u32_e32 v40, vcc, s0, v32
	v_addc_co_u32_e32 v41, vcc, v78, v33, vcc
	global_load_dwordx4 v[32:35], v[40:41], off offset:16
	global_load_dwordx4 v[36:39], v[40:41], off
	v_add3_u32 v40, s4, 10, v60
	v_ashrrev_i32_e32 v41, 31, v40
	v_lshlrev_b64 v[40:41], 4, v[40:41]
	v_add_co_u32_e32 v48, vcc, s0, v40
	v_addc_co_u32_e32 v49, vcc, v78, v41, vcc
	global_load_dwordx4 v[40:43], v[48:49], off offset:16
	global_load_dwordx4 v[44:47], v[48:49], off
	v_add3_u32 v48, s4, 12, v60
	v_ashrrev_i32_e32 v49, 31, v48
	v_lshlrev_b64 v[48:49], 4, v[48:49]
	v_add_co_u32_e32 v56, vcc, s0, v48
	v_addc_co_u32_e32 v57, vcc, v78, v49, vcc
	global_load_dwordx4 v[48:51], v[56:57], off offset:16
	global_load_dwordx4 v[52:55], v[56:57], off
	s_load_dwordx4 s[4:7], s[26:27], 0x0
	s_load_dwordx2 s[16:17], s[26:27], 0x10
	s_load_dword s20, s[26:27], 0x18
	s_load_dwordx4 s[8:11], s[26:27], 0xc4
	s_mov_b64 s[66:67], 0
	v_mov_b32_e32 v64, v61
	s_waitcnt lgkmcnt(0)
	s_mov_b32 s18, s4
	s_mov_b32 s19, s4
	;; [unrolled: 1-line block ×4, first 2 shown]
	s_load_dword s4, s[26:27], 0xdc
	s_load_dwordx2 s[24:25], s[26:27], 0xd4
	s_mov_b32 s26, s8
	s_mov_b32 s27, s8
	;; [unrolled: 1-line block ×29, first 2 shown]
	s_waitcnt lgkmcnt(0)
	s_mov_b32 s54, s24
	s_mov_b32 s55, s24
	;; [unrolled: 1-line block ×16, first 2 shown]
	v_pk_mov_b32 v[66:67], v[62:63], v[62:63] op_sel:[0,1]
.LBB19_2:                               ;   Parent Loop BB19_1 Depth=1
                                        ; =>  This Inner Loop Header: Depth=2
	global_load_dwordx4 v[56:59], v[66:67], off
	global_load_dwordx4 v[68:71], v[66:67], off offset:-16
	s_add_u32 s68, s12, s66
	s_addc_u32 s69, s13, s67
	s_load_dword s72, s[68:69], 0x0
	s_load_dword s70, s[68:69], 0x1c
	;; [unrolled: 1-line block ×4, first 2 shown]
	s_waitcnt vmcnt(15)
	v_xor_b32_e32 v77, 0x80000000, v3
	v_xor_b32_e32 v76, 0x80000000, v2
	v_ashrrev_i32_e32 v65, 31, v64
	s_add_u32 s66, s66, 4
	s_addc_u32 s67, s67, 0
	s_cmp_lg_u32 s66, 28
	s_waitcnt vmcnt(0)
	v_pk_fma_f32 v[74:75], v[68:69], s[18:19], 0 op_sel_hi:[1,1,0] neg_lo:[1,0,0] neg_hi:[1,0,0]
	s_waitcnt lgkmcnt(0)
	v_pk_fma_f32 v[74:75], v[4:5], s[72:73], v[74:75] op_sel_hi:[1,0,1]
	v_pk_fma_f32 v[74:75], v[56:57], s[26:27], v[74:75]
	v_pk_fma_f32 v[56:57], s[18:19], v[56:57], 0 op_sel_hi:[1,1,0]
	v_xor_b32_e32 v73, 0x80000000, v71
	v_xor_b32_e32 v72, 0x80000000, v70
	v_pk_fma_f32 v[56:57], v[4:5], s[74:75], v[56:57] op_sel_hi:[1,0,1] neg_lo:[1,0,0] neg_hi:[1,0,0]
	v_pk_fma_f32 v[72:73], v[72:73], s[22:23], 0 op_sel_hi:[1,1,0]
	v_pk_fma_f32 v[56:57], v[68:69], s[26:27], v[56:57]
	v_pk_fma_f32 v[72:73], v[6:7], s[72:73], v[72:73] op_sel_hi:[1,0,1]
	v_pk_fma_f32 v[82:83], s[72:73], v[0:1], v[56:57] op_sel_hi:[0,1,1] neg_lo:[1,0,0] neg_hi:[1,0,0]
	v_add_u32_e32 v56, 0xffffffba, v64
	v_pk_fma_f32 v[72:73], v[58:59], s[28:29], v[72:73]
	v_ashrrev_i32_e32 v57, 31, v56
	v_pk_fma_f32 v[76:77], v[76:77], s[74:75], v[72:73] op_sel_hi:[1,0,1]
	v_pk_fma_f32 v[58:59], s[22:23], v[58:59], 0 op_sel_hi:[1,1,0]
	v_xor_b32_e32 v73, 0x80000000, v7
	v_xor_b32_e32 v72, 0x80000000, v6
	v_lshlrev_b64 v[56:57], 4, v[56:57]
	v_pk_fma_f32 v[58:59], v[72:73], s[74:75], v[58:59] op_sel_hi:[1,0,1]
	v_add_co_u32_e32 v68, vcc, s0, v56
	v_mov_b32_e32 v72, s1
	v_pk_fma_f32 v[58:59], v[70:71], s[28:29], v[58:59]
	v_addc_co_u32_e32 v69, vcc, v72, v57, vcc
	v_pk_fma_f32 v[80:81], s[72:73], v[2:3], v[58:59] op_sel_hi:[0,1,1] neg_lo:[1,0,0] neg_hi:[1,0,0]
	global_load_dwordx4 v[56:59], v[68:69], off offset:16
	s_nop 0
	global_load_dwordx4 v[68:71], v[68:69], off
	s_load_dword s72, s[68:69], 0xe0
	v_pk_fma_f32 v[74:75], v[0:1], s[74:75], v[74:75] op_sel_hi:[1,0,1] neg_lo:[1,0,0] neg_hi:[1,0,0]
	s_waitcnt vmcnt(0)
	v_pk_fma_f32 v[74:75], v[68:69], s[30:31], v[74:75] neg_lo:[1,0,0] neg_hi:[1,0,0]
	v_pk_fma_f32 v[74:75], v[12:13], s[70:71], v[74:75] op_sel_hi:[1,0,1]
	v_pk_fma_f32 v[74:75], v[56:57], s[36:37], v[74:75]
	v_pk_fma_f32 v[56:57], s[30:31], v[56:57], v[82:83]
	s_waitcnt lgkmcnt(0)
	v_pk_fma_f32 v[56:57], v[12:13], s[72:73], v[56:57] op_sel_hi:[1,0,1] neg_lo:[1,0,0] neg_hi:[1,0,0]
	v_xor_b32_e32 v85, 0x80000000, v71
	v_xor_b32_e32 v84, 0x80000000, v70
	v_pk_fma_f32 v[56:57], v[68:69], s[36:37], v[56:57]
	v_pk_fma_f32 v[76:77], v[84:85], s[34:35], v[76:77]
	v_pk_fma_f32 v[82:83], s[70:71], v[8:9], v[56:57] op_sel_hi:[0,1,1] neg_lo:[1,0,0] neg_hi:[1,0,0]
	v_subrev_u32_e32 v56, 56, v64
	v_pk_fma_f32 v[76:77], v[14:15], s[70:71], v[76:77] op_sel_hi:[1,0,1]
	v_ashrrev_i32_e32 v57, 31, v56
	v_pk_fma_f32 v[76:77], v[58:59], s[8:9], v[76:77]
	v_pk_fma_f32 v[58:59], s[34:35], v[58:59], v[80:81]
	v_xor_b32_e32 v81, 0x80000000, v15
	v_xor_b32_e32 v80, 0x80000000, v14
	v_lshlrev_b64 v[56:57], 4, v[56:57]
	v_pk_fma_f32 v[58:59], v[80:81], s[72:73], v[58:59] op_sel_hi:[1,0,1]
	v_add_co_u32_e32 v68, vcc, s0, v56
	v_pk_fma_f32 v[58:59], v[70:71], s[8:9], v[58:59]
	v_addc_co_u32_e32 v69, vcc, v72, v57, vcc
	v_pk_fma_f32 v[80:81], s[70:71], v[10:11], v[58:59] op_sel_hi:[0,1,1] neg_lo:[1,0,0] neg_hi:[1,0,0]
	global_load_dwordx4 v[56:59], v[68:69], off offset:16
	s_nop 0
	global_load_dwordx4 v[68:71], v[68:69], off
	s_load_dword s70, s[68:69], 0xfc
	v_pk_fma_f32 v[74:75], v[8:9], s[72:73], v[74:75] op_sel_hi:[1,0,1] neg_lo:[1,0,0] neg_hi:[1,0,0]
	v_xor_b32_e32 v85, 0x80000000, v11
	v_xor_b32_e32 v84, 0x80000000, v10
	v_pk_fma_f32 v[76:77], v[84:85], s[72:73], v[76:77] op_sel_hi:[1,0,1]
	s_waitcnt vmcnt(0)
	v_pk_fma_f32 v[74:75], v[68:69], s[38:39], v[74:75] neg_lo:[1,0,0] neg_hi:[1,0,0]
	v_pk_fma_f32 v[74:75], v[20:21], s[14:15], v[74:75] op_sel_hi:[1,0,1]
	v_pk_fma_f32 v[74:75], v[56:57], s[42:43], v[74:75]
	v_pk_fma_f32 v[56:57], s[38:39], v[56:57], v[82:83]
	s_waitcnt lgkmcnt(0)
	v_pk_fma_f32 v[56:57], v[20:21], s[70:71], v[56:57] op_sel_hi:[1,0,1] neg_lo:[1,0,0] neg_hi:[1,0,0]
	v_xor_b32_e32 v85, 0x80000000, v71
	v_xor_b32_e32 v84, 0x80000000, v70
	v_pk_fma_f32 v[56:57], v[68:69], s[42:43], v[56:57]
	v_pk_fma_f32 v[76:77], v[84:85], s[40:41], v[76:77]
	v_pk_fma_f32 v[82:83], s[14:15], v[16:17], v[56:57] op_sel_hi:[0,1,1] neg_lo:[1,0,0] neg_hi:[1,0,0]
	v_subrev_u32_e32 v56, 42, v64
	v_pk_fma_f32 v[76:77], v[22:23], s[14:15], v[76:77] op_sel_hi:[1,0,1]
	v_ashrrev_i32_e32 v57, 31, v56
	v_pk_fma_f32 v[76:77], v[58:59], s[44:45], v[76:77]
	v_pk_fma_f32 v[58:59], s[40:41], v[58:59], v[80:81]
	v_xor_b32_e32 v81, 0x80000000, v23
	v_xor_b32_e32 v80, 0x80000000, v22
	v_lshlrev_b64 v[56:57], 4, v[56:57]
	v_pk_fma_f32 v[58:59], v[80:81], s[70:71], v[58:59] op_sel_hi:[1,0,1]
	v_add_co_u32_e32 v68, vcc, s0, v56
	v_pk_fma_f32 v[58:59], v[70:71], s[44:45], v[58:59]
	v_addc_co_u32_e32 v69, vcc, v72, v57, vcc
	v_pk_fma_f32 v[80:81], s[14:15], v[18:19], v[58:59] op_sel_hi:[0,1,1] neg_lo:[1,0,0] neg_hi:[1,0,0]
	global_load_dwordx4 v[56:59], v[68:69], off offset:16
	s_nop 0
	global_load_dwordx4 v[68:71], v[68:69], off
	s_load_dword s14, s[68:69], 0x54
	v_xor_b32_e32 v85, 0x80000000, v19
	v_xor_b32_e32 v84, 0x80000000, v18
	v_pk_fma_f32 v[76:77], v[84:85], s[70:71], v[76:77] op_sel_hi:[1,0,1]
	v_pk_fma_f32 v[74:75], v[16:17], s[70:71], v[74:75] op_sel_hi:[1,0,1] neg_lo:[1,0,0] neg_hi:[1,0,0]
	s_load_dword s70, s[68:69], 0x118
	s_waitcnt vmcnt(0)
	v_pk_fma_f32 v[74:75], v[68:69], s[46:47], v[74:75] neg_lo:[1,0,0] neg_hi:[1,0,0]
	s_waitcnt lgkmcnt(0)
	v_pk_fma_f32 v[74:75], v[28:29], s[14:15], v[74:75] op_sel_hi:[1,0,1]
	v_pk_fma_f32 v[74:75], v[56:57], s[48:49], v[74:75]
	v_pk_fma_f32 v[56:57], s[46:47], v[56:57], v[82:83]
	v_pk_fma_f32 v[56:57], v[28:29], s[70:71], v[56:57] op_sel_hi:[1,0,1] neg_lo:[1,0,0] neg_hi:[1,0,0]
	v_xor_b32_e32 v85, 0x80000000, v71
	v_xor_b32_e32 v84, 0x80000000, v70
	v_pk_fma_f32 v[56:57], v[68:69], s[48:49], v[56:57]
	v_pk_fma_f32 v[76:77], v[84:85], s[6:7], v[76:77]
	v_pk_fma_f32 v[82:83], s[14:15], v[24:25], v[56:57] op_sel_hi:[0,1,1] neg_lo:[1,0,0] neg_hi:[1,0,0]
	v_subrev_u32_e32 v56, 28, v64
	v_pk_fma_f32 v[76:77], v[30:31], s[14:15], v[76:77] op_sel_hi:[1,0,1]
	v_ashrrev_i32_e32 v57, 31, v56
	v_pk_fma_f32 v[76:77], v[58:59], s[10:11], v[76:77]
	v_pk_fma_f32 v[58:59], s[6:7], v[58:59], v[80:81]
	v_xor_b32_e32 v81, 0x80000000, v31
	v_xor_b32_e32 v80, 0x80000000, v30
	v_lshlrev_b64 v[56:57], 4, v[56:57]
	v_pk_fma_f32 v[58:59], v[80:81], s[70:71], v[58:59] op_sel_hi:[1,0,1]
	v_add_co_u32_e32 v68, vcc, s0, v56
	v_pk_fma_f32 v[58:59], v[70:71], s[10:11], v[58:59]
	v_addc_co_u32_e32 v69, vcc, v72, v57, vcc
	v_pk_fma_f32 v[80:81], s[14:15], v[26:27], v[58:59] op_sel_hi:[0,1,1] neg_lo:[1,0,0] neg_hi:[1,0,0]
	global_load_dwordx4 v[56:59], v[68:69], off offset:16
	s_nop 0
	global_load_dwordx4 v[68:71], v[68:69], off
	s_load_dword s14, s[68:69], 0x70
	v_xor_b32_e32 v85, 0x80000000, v27
	v_xor_b32_e32 v84, 0x80000000, v26
	v_pk_fma_f32 v[76:77], v[84:85], s[70:71], v[76:77] op_sel_hi:[1,0,1]
	v_pk_fma_f32 v[74:75], v[24:25], s[70:71], v[74:75] op_sel_hi:[1,0,1] neg_lo:[1,0,0] neg_hi:[1,0,0]
	s_load_dword s70, s[68:69], 0x134
	s_waitcnt vmcnt(0)
	v_pk_fma_f32 v[74:75], v[68:69], s[50:51], v[74:75] neg_lo:[1,0,0] neg_hi:[1,0,0]
	s_waitcnt lgkmcnt(0)
	v_pk_fma_f32 v[74:75], v[36:37], s[14:15], v[74:75] op_sel_hi:[1,0,1]
	v_pk_fma_f32 v[74:75], v[56:57], s[54:55], v[74:75]
	v_pk_fma_f32 v[56:57], s[50:51], v[56:57], v[82:83]
	v_pk_fma_f32 v[56:57], v[36:37], s[70:71], v[56:57] op_sel_hi:[1,0,1] neg_lo:[1,0,0] neg_hi:[1,0,0]
	v_xor_b32_e32 v85, 0x80000000, v71
	v_xor_b32_e32 v84, 0x80000000, v70
	v_pk_fma_f32 v[56:57], v[68:69], s[54:55], v[56:57]
	v_pk_fma_f32 v[76:77], v[84:85], s[52:53], v[76:77]
	v_pk_fma_f32 v[82:83], s[14:15], v[32:33], v[56:57] op_sel_hi:[0,1,1] neg_lo:[1,0,0] neg_hi:[1,0,0]
	v_add_u32_e32 v56, -14, v64
	v_pk_fma_f32 v[76:77], v[38:39], s[14:15], v[76:77] op_sel_hi:[1,0,1]
	v_ashrrev_i32_e32 v57, 31, v56
	v_pk_fma_f32 v[76:77], v[58:59], s[56:57], v[76:77]
	v_pk_fma_f32 v[86:87], v[32:33], s[70:71], v[74:75] op_sel_hi:[1,0,1] neg_lo:[1,0,0] neg_hi:[1,0,0]
	v_pk_fma_f32 v[58:59], s[52:53], v[58:59], v[80:81]
	v_xor_b32_e32 v75, 0x80000000, v39
	v_xor_b32_e32 v74, 0x80000000, v38
	v_lshlrev_b64 v[56:57], 4, v[56:57]
	v_pk_fma_f32 v[58:59], v[74:75], s[70:71], v[58:59] op_sel_hi:[1,0,1]
	v_add_co_u32_e32 v68, vcc, s0, v56
	v_xor_b32_e32 v85, 0x80000000, v35
	v_xor_b32_e32 v84, 0x80000000, v34
	v_pk_fma_f32 v[58:59], v[70:71], s[56:57], v[58:59]
	v_addc_co_u32_e32 v69, vcc, v72, v57, vcc
	v_pk_fma_f32 v[84:85], v[84:85], s[70:71], v[76:77] op_sel_hi:[1,0,1]
	v_pk_fma_f32 v[80:81], s[14:15], v[34:35], v[58:59] op_sel_hi:[0,1,1] neg_lo:[1,0,0] neg_hi:[1,0,0]
	global_load_dwordx4 v[56:59], v[68:69], off offset:16
	global_load_dwordx4 v[74:77], v[68:69], off
	s_load_dword s14, s[68:69], 0x8c
	s_load_dword s70, s[68:69], 0x150
	s_waitcnt vmcnt(0)
	v_xor_b32_e32 v69, 0x80000000, v77
	v_xor_b32_e32 v68, 0x80000000, v76
	v_pk_fma_f32 v[68:69], v[68:69], s[58:59], v[84:85]
	v_pk_fma_f32 v[70:71], v[74:75], s[16:17], v[86:87] neg_lo:[1,0,0] neg_hi:[1,0,0]
	s_waitcnt lgkmcnt(0)
	v_pk_fma_f32 v[68:69], v[46:47], s[14:15], v[68:69] op_sel_hi:[1,0,1]
	v_pk_fma_f32 v[70:71], v[44:45], s[14:15], v[70:71] op_sel_hi:[1,0,1]
	v_pk_fma_f32 v[68:69], v[58:59], s[60:61], v[68:69]
	v_pk_fma_f32 v[70:71], v[56:57], s[24:25], v[70:71]
	;; [unrolled: 1-line block ×4, first 2 shown]
	v_xor_b32_e32 v81, 0x80000000, v47
	v_xor_b32_e32 v80, 0x80000000, v46
	v_pk_fma_f32 v[58:59], v[80:81], s[70:71], v[58:59] op_sel_hi:[1,0,1]
	v_pk_fma_f32 v[56:57], v[44:45], s[70:71], v[56:57] op_sel_hi:[1,0,1] neg_lo:[1,0,0] neg_hi:[1,0,0]
	v_pk_fma_f32 v[58:59], v[76:77], s[60:61], v[58:59]
	v_pk_fma_f32 v[74:75], v[74:75], s[24:25], v[56:57]
	v_pk_fma_f32 v[56:57], s[14:15], v[42:43], v[58:59] op_sel_hi:[0,1,1] neg_lo:[1,0,0] neg_hi:[1,0,0]
	v_pk_fma_f32 v[58:59], s[14:15], v[40:41], v[74:75] op_sel_hi:[0,1,1] neg_lo:[1,0,0] neg_hi:[1,0,0]
	v_lshlrev_b64 v[74:75], 4, v[64:65]
	v_add_co_u32_e32 v76, vcc, s0, v74
	v_addc_co_u32_e32 v77, vcc, v72, v75, vcc
	global_load_dwordx4 v[72:75], v[76:77], off offset:16
	global_load_dwordx4 v[80:83], v[76:77], off
	s_load_dword s14, s[68:69], 0xa8
	v_pk_fma_f32 v[70:71], v[40:41], s[70:71], v[70:71] op_sel_hi:[1,0,1] neg_lo:[1,0,0] neg_hi:[1,0,0]
	s_load_dword s68, s[68:69], 0x16c
	v_xor_b32_e32 v85, 0x80000000, v43
	v_xor_b32_e32 v84, 0x80000000, v42
	v_pk_fma_f32 v[68:69], v[84:85], s[70:71], v[68:69] op_sel_hi:[1,0,1]
	s_waitcnt vmcnt(1)
	v_pk_fma_f32 v[56:57], s[62:63], v[74:75], v[56:57]
	s_waitcnt vmcnt(0)
	v_pk_fma_f32 v[70:71], v[80:81], s[20:21], v[70:71] neg_lo:[1,0,0] neg_hi:[1,0,0]
	s_waitcnt lgkmcnt(0)
	v_pk_fma_f32 v[70:71], v[52:53], s[14:15], v[70:71] op_sel_hi:[1,0,1]
	v_pk_fma_f32 v[70:71], v[72:73], s[4:5], v[70:71]
	v_pk_fma_f32 v[58:59], s[20:21], v[72:73], v[58:59]
	v_xor_b32_e32 v73, 0x80000000, v55
	v_xor_b32_e32 v72, 0x80000000, v54
	v_pk_fma_f32 v[56:57], v[72:73], s[68:69], v[56:57] op_sel_hi:[1,0,1]
	v_pk_fma_f32 v[56:57], v[82:83], s[64:65], v[56:57]
	v_xor_b32_e32 v77, 0x80000000, v83
	v_xor_b32_e32 v76, 0x80000000, v82
	v_pk_fma_f32 v[72:73], s[14:15], v[50:51], v[56:57] op_sel_hi:[0,1,1] neg_lo:[1,0,0] neg_hi:[1,0,0]
	v_add_u32_e32 v56, s33, v64
	v_pk_fma_f32 v[68:69], v[76:77], s[62:63], v[68:69]
	v_add_u32_e32 v56, 0xffffffac, v56
	v_pk_fma_f32 v[68:69], v[54:55], s[14:15], v[68:69] op_sel_hi:[1,0,1]
	v_ashrrev_i32_e32 v57, 31, v56
	v_pk_fma_f32 v[68:69], v[74:75], s[64:65], v[68:69]
	v_xor_b32_e32 v77, 0x80000000, v51
	v_xor_b32_e32 v76, 0x80000000, v50
	v_lshlrev_b64 v[56:57], 4, v[56:57]
	v_pk_fma_f32 v[68:69], v[76:77], s[68:69], v[68:69] op_sel_hi:[1,0,1]
	v_pk_fma_f32 v[58:59], v[52:53], s[68:69], v[58:59] op_sel_hi:[1,0,1] neg_lo:[1,0,0] neg_hi:[1,0,0]
	v_add_co_u32_e32 v76, vcc, s2, v56
	v_mov_b32_e32 v56, s3
	v_pk_fma_f32 v[58:59], v[80:81], s[4:5], v[58:59]
	v_addc_co_u32_e32 v77, vcc, v56, v57, vcc
	v_pk_fma_f32 v[74:75], s[14:15], v[48:49], v[58:59] op_sel_hi:[0,1,1] neg_lo:[1,0,0] neg_hi:[1,0,0]
	global_load_dwordx4 v[56:59], v[76:77], off offset:16
	global_load_dwordx4 v[80:83], v[76:77], off
	v_pk_fma_f32 v[70:71], v[48:49], s[68:69], v[70:71] op_sel_hi:[1,0,1] neg_lo:[1,0,0] neg_hi:[1,0,0]
	v_add_co_u32_e32 v66, vcc, 32, v66
	v_addc_co_u32_e32 v67, vcc, 0, v67, vcc
	v_add_u32_e32 v64, 2, v64
	s_waitcnt vmcnt(1)
	v_pk_add_f32 v[58:59], v[68:69], v[58:59]
	s_waitcnt vmcnt(0)
	v_pk_add_f32 v[82:83], v[72:73], v[82:83]
	v_pk_add_f32 v[80:81], v[74:75], v[80:81]
	;; [unrolled: 1-line block ×3, first 2 shown]
	global_store_dwordx4 v[76:77], v[80:83], off
	global_store_dwordx4 v[76:77], v[56:59], off offset:16
	s_cbranch_scc1 .LBB19_2
; %bb.3:                                ;   in Loop: Header=BB19_1 Depth=1
	s_add_i32 s71, s71, 1
	s_add_i32 s33, s33, 14
	s_cmp_eq_u32 s71, 7
	s_cbranch_scc0 .LBB19_1
; %bb.4:
	s_endpgm
	.section	.rodata,"a",@progbits
	.p2align	6, 0x0
	.amdhsa_kernel _Z41comm_manual_aosoa_constants_perm_prefetchPK15HIP_vector_typeIfLj2EEPS0_S2_
		.amdhsa_group_segment_fixed_size 0
		.amdhsa_private_segment_fixed_size 0
		.amdhsa_kernarg_size 280
		.amdhsa_user_sgpr_count 6
		.amdhsa_user_sgpr_private_segment_buffer 1
		.amdhsa_user_sgpr_dispatch_ptr 0
		.amdhsa_user_sgpr_queue_ptr 0
		.amdhsa_user_sgpr_kernarg_segment_ptr 1
		.amdhsa_user_sgpr_dispatch_id 0
		.amdhsa_user_sgpr_flat_scratch_init 0
		.amdhsa_user_sgpr_kernarg_preload_length 0
		.amdhsa_user_sgpr_kernarg_preload_offset 0
		.amdhsa_user_sgpr_private_segment_size 0
		.amdhsa_uses_dynamic_stack 0
		.amdhsa_system_sgpr_private_segment_wavefront_offset 0
		.amdhsa_system_sgpr_workgroup_id_x 1
		.amdhsa_system_sgpr_workgroup_id_y 0
		.amdhsa_system_sgpr_workgroup_id_z 0
		.amdhsa_system_sgpr_workgroup_info 0
		.amdhsa_system_vgpr_workitem_id 0
		.amdhsa_next_free_vgpr 88
		.amdhsa_next_free_sgpr 76
		.amdhsa_accum_offset 88
		.amdhsa_reserve_vcc 1
		.amdhsa_reserve_flat_scratch 0
		.amdhsa_float_round_mode_32 0
		.amdhsa_float_round_mode_16_64 0
		.amdhsa_float_denorm_mode_32 3
		.amdhsa_float_denorm_mode_16_64 3
		.amdhsa_dx10_clamp 1
		.amdhsa_ieee_mode 1
		.amdhsa_fp16_overflow 0
		.amdhsa_tg_split 0
		.amdhsa_exception_fp_ieee_invalid_op 0
		.amdhsa_exception_fp_denorm_src 0
		.amdhsa_exception_fp_ieee_div_zero 0
		.amdhsa_exception_fp_ieee_overflow 0
		.amdhsa_exception_fp_ieee_underflow 0
		.amdhsa_exception_fp_ieee_inexact 0
		.amdhsa_exception_int_div_zero 0
	.end_amdhsa_kernel
	.text
.Lfunc_end19:
	.size	_Z41comm_manual_aosoa_constants_perm_prefetchPK15HIP_vector_typeIfLj2EEPS0_S2_, .Lfunc_end19-_Z41comm_manual_aosoa_constants_perm_prefetchPK15HIP_vector_typeIfLj2EEPS0_S2_
                                        ; -- End function
	.section	.AMDGPU.csdata,"",@progbits
; Kernel info:
; codeLenInByte = 2556
; NumSgprs: 80
; NumVgprs: 88
; NumAgprs: 0
; TotalNumVgprs: 88
; ScratchSize: 0
; MemoryBound: 1
; FloatMode: 240
; IeeeMode: 1
; LDSByteSize: 0 bytes/workgroup (compile time only)
; SGPRBlocks: 9
; VGPRBlocks: 10
; NumSGPRsForWavesPerEU: 80
; NumVGPRsForWavesPerEU: 88
; AccumOffset: 88
; Occupancy: 5
; WaveLimiterHint : 1
; COMPUTE_PGM_RSRC2:SCRATCH_EN: 0
; COMPUTE_PGM_RSRC2:USER_SGPR: 6
; COMPUTE_PGM_RSRC2:TRAP_HANDLER: 0
; COMPUTE_PGM_RSRC2:TGID_X_EN: 1
; COMPUTE_PGM_RSRC2:TGID_Y_EN: 0
; COMPUTE_PGM_RSRC2:TGID_Z_EN: 0
; COMPUTE_PGM_RSRC2:TIDIG_COMP_CNT: 0
; COMPUTE_PGM_RSRC3_GFX90A:ACCUM_OFFSET: 21
; COMPUTE_PGM_RSRC3_GFX90A:TG_SPLIT: 0
	.text
	.protected	_Z24comm_manual_aosoa_directPK15HIP_vector_typeIfLj2EEPS0_S2_i ; -- Begin function _Z24comm_manual_aosoa_directPK15HIP_vector_typeIfLj2EEPS0_S2_i
	.globl	_Z24comm_manual_aosoa_directPK15HIP_vector_typeIfLj2EEPS0_S2_i
	.p2align	8
	.type	_Z24comm_manual_aosoa_directPK15HIP_vector_typeIfLj2EEPS0_S2_i,@function
_Z24comm_manual_aosoa_directPK15HIP_vector_typeIfLj2EEPS0_S2_i: ; @_Z24comm_manual_aosoa_directPK15HIP_vector_typeIfLj2EEPS0_S2_i
; %bb.0:
	s_load_dword s8, s[4:5], 0x18
	s_waitcnt lgkmcnt(0)
	s_cmp_lt_i32 s8, 1
	s_cbranch_scc1 .LBB20_7
; %bb.1:
	s_load_dword s7, s[4:5], 0x2c
	s_load_dwordx4 s[0:3], s[4:5], 0x0
	s_load_dwordx2 s[10:11], s[4:5], 0x10
	s_mul_i32 s23, s8, s8
	s_mov_b32 s5, 0
	s_waitcnt lgkmcnt(0)
	s_and_b32 s4, s7, 0xffff
	s_mul_i32 s6, s6, s4
	v_add_u32_e32 v0, s6, v0
	v_mul_lo_u32 v1, v0, s8
	v_mul_lo_u32 v0, s23, v0
	s_mov_b32 s9, s5
	v_lshlrev_b32_e32 v27, 1, v0
	v_mul_lo_u32 v26, v1, s8
	s_lshl_b64 s[6:7], s[8:9], 2
	s_lshl_b32 s9, s8, 1
	v_mov_b32_e32 v28, s3
	v_mov_b32_e32 v29, s1
	;; [unrolled: 1-line block ×3, first 2 shown]
	s_mov_b64 s[12:13], s[10:11]
	s_mov_b32 s1, s23
	s_mov_b32 s3, 0
.LBB20_2:                               ; =>This Loop Header: Depth=1
                                        ;     Child Loop BB20_3 Depth 2
                                        ;       Child Loop BB20_4 Depth 3
	s_mul_i32 s4, s3, s8
	v_add_u32_e32 v31, s4, v26
	v_mov_b32_e32 v32, v27
	s_mov_b64 s[14:15], s[10:11]
	s_mov_b32 s25, s23
	s_mov_b32 s26, s5
.LBB20_3:                               ;   Parent Loop BB20_2 Depth=1
                                        ; =>  This Loop Header: Depth=2
                                        ;       Child Loop BB20_4 Depth 3
	v_add_lshl_u32 v0, v31, s26, 1
	v_ashrrev_i32_e32 v1, 31, v0
	v_lshlrev_b64 v[0:1], 4, v[0:1]
	v_add_co_u32_e32 v20, vcc, s2, v0
	v_addc_co_u32_e32 v21, vcc, v28, v1, vcc
	global_load_dwordx4 v[0:3], v[20:21], off offset:16
	global_load_dwordx4 v[4:7], v[20:21], off
	s_mov_b32 s27, 0
	v_mov_b32_e32 v22, v30
	s_mov_b64 s[16:17], s[12:13]
	v_mov_b32_e32 v24, v32
	s_mov_b64 s[18:19], s[14:15]
	s_mov_b32 s20, s25
.LBB20_4:                               ;   Parent Loop BB20_2 Depth=1
                                        ;     Parent Loop BB20_3 Depth=2
                                        ; =>    This Inner Loop Header: Depth=3
	v_ashrrev_i32_e32 v25, 31, v24
	v_lshlrev_b64 v[8:9], 4, v[24:25]
	v_ashrrev_i32_e32 v23, 31, v22
	v_add_co_u32_e32 v38, vcc, s0, v8
	v_lshlrev_b64 v[10:11], 4, v[22:23]
	v_addc_co_u32_e32 v39, vcc, v29, v9, vcc
	v_add_co_u32_e32 v40, vcc, s0, v10
	v_addc_co_u32_e32 v41, vcc, v29, v11, vcc
	global_load_dwordx4 v[8:11], v[38:39], off
	global_load_dwordx4 v[12:15], v[40:41], off offset:16
	global_load_dwordx4 v[16:19], v[38:39], off offset:16
	global_load_dwordx4 v[34:37], v[40:41], off
	s_add_i32 s4, s1, s27
	s_lshl_b64 s[28:29], s[4:5], 2
	s_add_u32 s28, s10, s28
	s_addc_u32 s29, s11, s29
	s_ashr_i32 s21, s20, 31
	s_lshl_b64 s[30:31], s[20:21], 2
	s_load_dword s24, s[16:17], 0x0
	s_load_dword s22, s[18:19], 0x0
	;; [unrolled: 1-line block ×3, first 2 shown]
	s_add_u32 s28, s10, s30
	s_addc_u32 s29, s11, s31
	s_load_dword s28, s[28:29], 0x0
	s_add_i32 s27, s27, 1
	s_add_i32 s20, s20, s8
	s_add_u32 s18, s18, s6
	s_addc_u32 s19, s19, s7
	s_add_u32 s16, s16, 4
	s_addc_u32 s17, s17, 0
	v_add_u32_e32 v24, s9, v24
	v_add_u32_e32 v22, 2, v22
	s_cmp_eq_u32 s8, s27
	s_waitcnt vmcnt(3)
	v_xor_b32_e32 v39, 0x80000000, v11
	v_xor_b32_e32 v38, 0x80000000, v10
	s_waitcnt lgkmcnt(0)
	v_pk_fma_f32 v[0:1], v[8:9], s[24:25], v[0:1] op_sel_hi:[1,0,1] neg_lo:[1,0,0] neg_hi:[1,0,0]
	s_waitcnt vmcnt(1)
	v_pk_fma_f32 v[4:5], s[24:25], v[16:17], v[4:5] op_sel_hi:[0,1,1]
	v_pk_fma_f32 v[6:7], s[24:25], v[18:19], v[6:7] op_sel_hi:[0,1,1]
	s_waitcnt vmcnt(0)
	v_xor_b32_e32 v43, 0x80000000, v37
	v_xor_b32_e32 v42, 0x80000000, v36
	v_pk_fma_f32 v[2:3], v[38:39], s[24:25], v[2:3] op_sel_hi:[1,0,1]
	v_pk_fma_f32 v[0:1], v[34:35], s[22:23], v[0:1] op_sel_hi:[1,0,1]
	;; [unrolled: 1-line block ×3, first 2 shown]
	v_pk_fma_f32 v[4:5], v[34:35], s[28:29], v[4:5] op_sel_hi:[1,0,1] neg_lo:[1,0,0] neg_hi:[1,0,0]
	v_pk_fma_f32 v[2:3], v[36:37], s[22:23], v[2:3] op_sel_hi:[1,0,1]
	v_xor_b32_e32 v41, 0x80000000, v15
	v_xor_b32_e32 v40, 0x80000000, v14
	v_pk_fma_f32 v[0:1], v[16:17], s[4:5], v[0:1] op_sel_hi:[1,0,1]
	v_pk_fma_f32 v[6:7], v[10:11], s[4:5], v[6:7] op_sel_hi:[1,0,1]
	;; [unrolled: 1-line block ×4, first 2 shown]
	v_pk_fma_f32 v[0:1], v[12:13], s[28:29], v[0:1] op_sel_hi:[1,0,1] neg_lo:[1,0,0] neg_hi:[1,0,0]
	v_pk_fma_f32 v[6:7], s[22:23], v[14:15], v[6:7] op_sel_hi:[0,1,1] neg_lo:[1,0,0] neg_hi:[1,0,0]
	;; [unrolled: 1-line block ×3, first 2 shown]
	v_pk_fma_f32 v[2:3], v[40:41], s[28:29], v[2:3] op_sel_hi:[1,0,1]
	s_cbranch_scc0 .LBB20_4
; %bb.5:                                ;   in Loop: Header=BB20_3 Depth=2
	s_add_i32 s26, s26, 1
	s_add_i32 s25, s25, 1
	s_add_u32 s14, s14, 4
	s_addc_u32 s15, s15, 0
	s_cmp_eq_u32 s26, s8
	v_add_u32_e32 v32, 2, v32
	global_store_dwordx4 v[20:21], v[0:3], off offset:16
	global_store_dwordx4 v[20:21], v[4:7], off
	s_cbranch_scc0 .LBB20_3
; %bb.6:                                ;   in Loop: Header=BB20_2 Depth=1
	s_add_i32 s3, s3, 1
	s_add_i32 s1, s1, s8
	s_add_u32 s12, s12, s6
	s_addc_u32 s13, s13, s7
	s_cmp_eq_u32 s3, s8
	v_add_u32_e32 v30, s9, v30
	s_cbranch_scc0 .LBB20_2
.LBB20_7:
	s_endpgm
	.section	.rodata,"a",@progbits
	.p2align	6, 0x0
	.amdhsa_kernel _Z24comm_manual_aosoa_directPK15HIP_vector_typeIfLj2EEPS0_S2_i
		.amdhsa_group_segment_fixed_size 0
		.amdhsa_private_segment_fixed_size 0
		.amdhsa_kernarg_size 288
		.amdhsa_user_sgpr_count 6
		.amdhsa_user_sgpr_private_segment_buffer 1
		.amdhsa_user_sgpr_dispatch_ptr 0
		.amdhsa_user_sgpr_queue_ptr 0
		.amdhsa_user_sgpr_kernarg_segment_ptr 1
		.amdhsa_user_sgpr_dispatch_id 0
		.amdhsa_user_sgpr_flat_scratch_init 0
		.amdhsa_user_sgpr_kernarg_preload_length 0
		.amdhsa_user_sgpr_kernarg_preload_offset 0
		.amdhsa_user_sgpr_private_segment_size 0
		.amdhsa_uses_dynamic_stack 0
		.amdhsa_system_sgpr_private_segment_wavefront_offset 0
		.amdhsa_system_sgpr_workgroup_id_x 1
		.amdhsa_system_sgpr_workgroup_id_y 0
		.amdhsa_system_sgpr_workgroup_id_z 0
		.amdhsa_system_sgpr_workgroup_info 0
		.amdhsa_system_vgpr_workitem_id 0
		.amdhsa_next_free_vgpr 44
		.amdhsa_next_free_sgpr 32
		.amdhsa_accum_offset 44
		.amdhsa_reserve_vcc 1
		.amdhsa_reserve_flat_scratch 0
		.amdhsa_float_round_mode_32 0
		.amdhsa_float_round_mode_16_64 0
		.amdhsa_float_denorm_mode_32 3
		.amdhsa_float_denorm_mode_16_64 3
		.amdhsa_dx10_clamp 1
		.amdhsa_ieee_mode 1
		.amdhsa_fp16_overflow 0
		.amdhsa_tg_split 0
		.amdhsa_exception_fp_ieee_invalid_op 0
		.amdhsa_exception_fp_denorm_src 0
		.amdhsa_exception_fp_ieee_div_zero 0
		.amdhsa_exception_fp_ieee_overflow 0
		.amdhsa_exception_fp_ieee_underflow 0
		.amdhsa_exception_fp_ieee_inexact 0
		.amdhsa_exception_int_div_zero 0
	.end_amdhsa_kernel
	.text
.Lfunc_end20:
	.size	_Z24comm_manual_aosoa_directPK15HIP_vector_typeIfLj2EEPS0_S2_i, .Lfunc_end20-_Z24comm_manual_aosoa_directPK15HIP_vector_typeIfLj2EEPS0_S2_i
                                        ; -- End function
	.section	.AMDGPU.csdata,"",@progbits
; Kernel info:
; codeLenInByte = 672
; NumSgprs: 36
; NumVgprs: 44
; NumAgprs: 0
; TotalNumVgprs: 44
; ScratchSize: 0
; MemoryBound: 1
; FloatMode: 240
; IeeeMode: 1
; LDSByteSize: 0 bytes/workgroup (compile time only)
; SGPRBlocks: 4
; VGPRBlocks: 5
; NumSGPRsForWavesPerEU: 36
; NumVGPRsForWavesPerEU: 44
; AccumOffset: 44
; Occupancy: 8
; WaveLimiterHint : 0
; COMPUTE_PGM_RSRC2:SCRATCH_EN: 0
; COMPUTE_PGM_RSRC2:USER_SGPR: 6
; COMPUTE_PGM_RSRC2:TRAP_HANDLER: 0
; COMPUTE_PGM_RSRC2:TGID_X_EN: 1
; COMPUTE_PGM_RSRC2:TGID_Y_EN: 0
; COMPUTE_PGM_RSRC2:TGID_Z_EN: 0
; COMPUTE_PGM_RSRC2:TIDIG_COMP_CNT: 0
; COMPUTE_PGM_RSRC3_GFX90A:ACCUM_OFFSET: 10
; COMPUTE_PGM_RSRC3_GFX90A:TG_SPLIT: 0
	.text
	.protected	_Z34comm_manual_aosoa_constants_directPK15HIP_vector_typeIfLj2EEPS0_S2_ ; -- Begin function _Z34comm_manual_aosoa_constants_directPK15HIP_vector_typeIfLj2EEPS0_S2_
	.globl	_Z34comm_manual_aosoa_constants_directPK15HIP_vector_typeIfLj2EEPS0_S2_
	.p2align	8
	.type	_Z34comm_manual_aosoa_constants_directPK15HIP_vector_typeIfLj2EEPS0_S2_,@function
_Z34comm_manual_aosoa_constants_directPK15HIP_vector_typeIfLj2EEPS0_S2_: ; @_Z34comm_manual_aosoa_constants_directPK15HIP_vector_typeIfLj2EEPS0_S2_
; %bb.0:
	s_load_dword s7, s[4:5], 0x24
	s_load_dwordx4 s[0:3], s[4:5], 0x0
	s_load_dwordx2 s[12:13], s[4:5], 0x10
	s_mov_b32 s69, 0
	s_waitcnt lgkmcnt(0)
	s_and_b32 s4, s7, 0xffff
	s_mul_i32 s6, s6, s4
	v_add_u32_e32 v0, s6, v0
	s_movk_i32 s4, 0x62
	v_mul_lo_u32 v80, v0, s4
	v_ashrrev_i32_e32 v81, 31, v80
	v_lshlrev_b64 v[0:1], 4, v[80:81]
	v_mov_b32_e32 v2, s1
	v_add_co_u32_e32 v0, vcc, s0, v0
	v_addc_co_u32_e32 v1, vcc, v1, v2, vcc
	s_add_u32 s33, s2, 16
	v_add_co_u32_e32 v82, vcc, 16, v0
	s_addc_u32 s2, s3, 0
	v_addc_co_u32_e32 v83, vcc, 0, v1, vcc
	v_add_u32_e32 v81, 0x54, v80
	s_mov_b32 s3, 0
	v_mov_b32_e32 v96, s2
	v_mov_b32_e32 v97, s1
	;; [unrolled: 1-line block ×3, first 2 shown]
.LBB21_1:                               ; =>This Loop Header: Depth=1
                                        ;     Child Loop BB21_2 Depth 2
	s_mul_i32 s2, s69, 7
	s_lshl_b64 s[4:5], s[2:3], 2
	s_add_u32 s22, s12, s4
	s_addc_u32 s23, s13, s5
	v_mad_u64_u32 v[0:1], s[4:5], s69, 14, v[80:81]
	v_ashrrev_i32_e32 v1, 31, v0
	v_lshlrev_b64 v[0:1], 4, v[0:1]
	v_add_co_u32_e32 v8, vcc, s0, v0
	v_addc_co_u32_e32 v9, vcc, v97, v1, vcc
	s_lshl_b32 s2, s2, 1
	global_load_dwordx4 v[0:3], v[8:9], off offset:16
	global_load_dwordx4 v[4:7], v[8:9], off
	v_add3_u32 v8, s2, 2, v80
	v_ashrrev_i32_e32 v9, 31, v8
	v_lshlrev_b64 v[8:9], 4, v[8:9]
	v_add_co_u32_e32 v16, vcc, s0, v8
	v_addc_co_u32_e32 v17, vcc, v97, v9, vcc
	global_load_dwordx4 v[8:11], v[16:17], off offset:16
	global_load_dwordx4 v[12:15], v[16:17], off
	v_add3_u32 v16, s2, 4, v80
	v_ashrrev_i32_e32 v17, 31, v16
	v_lshlrev_b64 v[16:17], 4, v[16:17]
	v_add_co_u32_e32 v24, vcc, s0, v16
	v_addc_co_u32_e32 v25, vcc, v97, v17, vcc
	;; [unrolled: 7-line block ×4, first 2 shown]
	global_load_dwordx4 v[32:35], v[40:41], off offset:16
	global_load_dwordx4 v[36:39], v[40:41], off
	v_add3_u32 v40, s2, 10, v80
	v_ashrrev_i32_e32 v41, 31, v40
	v_lshlrev_b64 v[40:41], 4, v[40:41]
	v_add_co_u32_e32 v52, vcc, s0, v40
	v_add3_u32 v40, s2, 12, v80
	v_addc_co_u32_e32 v53, vcc, v97, v41, vcc
	v_ashrrev_i32_e32 v41, 31, v40
	v_lshlrev_b64 v[40:41], 4, v[40:41]
	v_add_co_u32_e32 v54, vcc, s0, v40
	v_addc_co_u32_e32 v55, vcc, v97, v41, vcc
	global_load_dwordx4 v[40:43], v[52:53], off offset:16
	global_load_dwordx4 v[44:47], v[52:53], off
	global_load_dwordx4 v[48:51], v[54:55], off offset:16
                                        ; kill: killed $vgpr52 killed $vgpr53
	s_nop 0
	global_load_dwordx4 v[52:55], v[54:55], off
	s_load_dwordx4 s[4:7], s[22:23], 0x0
	s_load_dwordx2 s[14:15], s[22:23], 0x10
	s_load_dword s18, s[22:23], 0x18
	s_load_dwordx4 s[8:11], s[22:23], 0xc4
	v_ashrrev_i32_e32 v85, 31, v84
	v_lshlrev_b64 v[56:57], 4, v[84:85]
	s_waitcnt lgkmcnt(0)
	s_mov_b32 s16, s4
	s_mov_b32 s17, s4
	;; [unrolled: 1-line block ×4, first 2 shown]
	s_load_dword s4, s[22:23], 0xdc
	s_nop 0
	s_load_dwordx2 s[22:23], s[22:23], 0xd4
	v_add_co_u32_e32 v86, vcc, s33, v56
	v_addc_co_u32_e32 v87, vcc, v96, v57, vcc
	s_mov_b32 s24, s8
	s_mov_b32 s25, s8
	;; [unrolled: 1-line block ×29, first 2 shown]
	s_waitcnt lgkmcnt(0)
	s_mov_b32 s52, s22
	s_mov_b32 s53, s22
	;; [unrolled: 1-line block ×16, first 2 shown]
	s_mov_b64 s[64:65], 0
	v_mov_b32_e32 v88, v81
	v_pk_mov_b32 v[90:91], v[82:83], v[82:83] op_sel:[0,1]
.LBB21_2:                               ;   Parent Loop BB21_1 Depth=1
                                        ; =>  This Inner Loop Header: Depth=2
	global_load_dwordx4 v[56:59], v[90:91], off offset:-16
	global_load_dwordx4 v[64:67], v[86:87], off
	global_load_dwordx4 v[68:71], v[86:87], off offset:-16
	global_load_dwordx4 v[60:63], v[90:91], off
	v_add_u32_e32 v72, 0xffffffba, v88
	v_ashrrev_i32_e32 v73, 31, v72
	v_lshlrev_b64 v[72:73], 4, v[72:73]
	v_mov_b32_e32 v85, s1
	v_add_co_u32_e32 v76, vcc, s0, v72
	v_addc_co_u32_e32 v77, vcc, v85, v73, vcc
	global_load_dwordx4 v[72:75], v[76:77], off offset:16
	s_nop 0
	global_load_dwordx4 v[76:79], v[76:77], off
	s_add_u32 s66, s12, s64
	s_waitcnt vmcnt(18)
	v_xor_b32_e32 v95, 0x80000000, v7
	v_xor_b32_e32 v94, 0x80000000, v6
	s_addc_u32 s67, s13, s65
	s_load_dword s68, s[66:67], 0xc4
	s_load_dword s72, s[66:67], 0x0
	;; [unrolled: 1-line block ×8, first 2 shown]
	v_ashrrev_i32_e32 v89, 31, v88
	s_add_u32 s64, s64, 4
	s_addc_u32 s65, s65, 0
	s_cmp_lg_u32 s64, 28
	s_waitcnt vmcnt(5)
	v_xor_b32_e32 v93, 0x80000000, v59
	v_xor_b32_e32 v92, 0x80000000, v58
	s_waitcnt vmcnt(4)
	v_pk_fma_f32 v[66:67], v[92:93], s[20:21], v[66:67]
	s_waitcnt vmcnt(2)
	v_pk_fma_f32 v[70:71], s[20:21], v[62:63], v[70:71]
	v_pk_fma_f32 v[68:69], s[16:17], v[60:61], v[68:69]
	s_waitcnt lgkmcnt(0)
	v_pk_fma_f32 v[70:71], v[94:95], s[68:69], v[70:71] op_sel_hi:[1,0,1]
	v_subrev_u32_e32 v94, 56, v88
	v_pk_fma_f32 v[68:69], v[4:5], s[68:69], v[68:69] op_sel_hi:[1,0,1] neg_lo:[1,0,0] neg_hi:[1,0,0]
	v_ashrrev_i32_e32 v95, 31, v94
	v_pk_fma_f32 v[92:93], v[56:57], s[16:17], v[64:65] neg_lo:[1,0,0] neg_hi:[1,0,0]
	v_pk_fma_f32 v[58:59], v[58:59], s[26:27], v[70:71]
	v_pk_fma_f32 v[56:57], v[56:57], s[24:25], v[68:69]
	v_subrev_u32_e32 v68, 42, v88
	v_lshlrev_b64 v[70:71], 4, v[94:95]
	v_ashrrev_i32_e32 v69, 31, v68
	v_add_co_u32_e32 v70, vcc, s0, v70
	v_pk_fma_f32 v[92:93], v[4:5], s[72:73], v[92:93] op_sel_hi:[1,0,1]
	v_pk_fma_f32 v[66:67], v[6:7], s[72:73], v[66:67] op_sel_hi:[1,0,1]
	v_pk_fma_f32 v[58:59], s[72:73], v[2:3], v[58:59] op_sel_hi:[0,1,1] neg_lo:[1,0,0] neg_hi:[1,0,0]
	v_pk_fma_f32 v[56:57], s[72:73], v[0:1], v[56:57] op_sel_hi:[0,1,1] neg_lo:[1,0,0] neg_hi:[1,0,0]
	v_xor_b32_e32 v65, 0x80000000, v15
	v_xor_b32_e32 v64, 0x80000000, v14
	v_lshlrev_b64 v[68:69], 4, v[68:69]
	v_addc_co_u32_e32 v71, vcc, v85, v71, vcc
	v_xor_b32_e32 v95, 0x80000000, v3
	v_xor_b32_e32 v94, 0x80000000, v2
	v_pk_fma_f32 v[60:61], v[60:61], s[24:25], v[92:93]
	v_pk_fma_f32 v[62:63], v[62:63], s[26:27], v[66:67]
	s_waitcnt vmcnt(1)
	v_pk_fma_f32 v[58:59], s[30:31], v[74:75], v[58:59]
	v_pk_fma_f32 v[56:57], s[28:29], v[72:73], v[56:57]
	v_add_co_u32_e32 v68, vcc, s0, v68
	v_pk_fma_f32 v[60:61], v[0:1], s[68:69], v[60:61] op_sel_hi:[1,0,1] neg_lo:[1,0,0] neg_hi:[1,0,0]
	v_pk_fma_f32 v[62:63], v[94:95], s[68:69], v[62:63] op_sel_hi:[1,0,1]
	s_load_dword s84, s[66:67], 0xe0
	s_load_dword s86, s[66:67], 0xfc
	;; [unrolled: 1-line block ×5, first 2 shown]
	s_nop 0
	s_load_dword s66, s[66:67], 0x16c
	s_waitcnt vmcnt(0)
	v_xor_b32_e32 v67, 0x80000000, v79
	v_xor_b32_e32 v66, 0x80000000, v78
	s_waitcnt lgkmcnt(0)
	v_pk_fma_f32 v[58:59], v[64:65], s[84:85], v[58:59] op_sel_hi:[1,0,1]
	v_pk_fma_f32 v[56:57], v[12:13], s[84:85], v[56:57] op_sel_hi:[1,0,1] neg_lo:[1,0,0] neg_hi:[1,0,0]
	v_addc_co_u32_e32 v69, vcc, v85, v69, vcc
	v_pk_fma_f32 v[60:61], v[76:77], s[28:29], v[60:61] neg_lo:[1,0,0] neg_hi:[1,0,0]
	v_pk_fma_f32 v[62:63], v[66:67], s[30:31], v[62:63]
	v_pk_fma_f32 v[58:59], v[78:79], s[8:9], v[58:59]
	;; [unrolled: 1-line block ×3, first 2 shown]
	v_pk_fma_f32 v[92:93], v[12:13], s[2:3], v[60:61] op_sel_hi:[1,0,1]
	v_pk_fma_f32 v[76:77], v[14:15], s[2:3], v[62:63] op_sel_hi:[1,0,1]
	v_pk_fma_f32 v[78:79], s[2:3], v[10:11], v[58:59] op_sel_hi:[0,1,1] neg_lo:[1,0,0] neg_hi:[1,0,0]
	v_pk_fma_f32 v[94:95], s[2:3], v[8:9], v[56:57] op_sel_hi:[0,1,1] neg_lo:[1,0,0] neg_hi:[1,0,0]
	global_load_dwordx4 v[56:59], v[70:71], off offset:16
	global_load_dwordx4 v[60:63], v[70:71], off
	global_load_dwordx4 v[64:67], v[68:69], off offset:16
	s_nop 0
	global_load_dwordx4 v[68:71], v[68:69], off
	v_pk_fma_f32 v[72:73], v[72:73], s[34:35], v[92:93]
	v_pk_fma_f32 v[72:73], v[8:9], s[84:85], v[72:73] op_sel_hi:[1,0,1] neg_lo:[1,0,0] neg_hi:[1,0,0]
	v_pk_fma_f32 v[74:75], v[74:75], s[8:9], v[76:77]
	v_xor_b32_e32 v77, 0x80000000, v23
	v_xor_b32_e32 v76, 0x80000000, v22
	s_waitcnt vmcnt(3)
	v_pk_fma_f32 v[78:79], s[38:39], v[58:59], v[78:79]
	s_waitcnt vmcnt(2)
	v_pk_fma_f32 v[92:93], v[60:61], s[36:37], v[72:73] neg_lo:[1,0,0] neg_hi:[1,0,0]
	v_pk_fma_f32 v[72:73], s[36:37], v[56:57], v[94:95]
	v_pk_fma_f32 v[72:73], v[20:21], s[86:87], v[72:73] op_sel_hi:[1,0,1] neg_lo:[1,0,0] neg_hi:[1,0,0]
	v_pk_fma_f32 v[94:95], v[60:61], s[40:41], v[72:73]
	v_xor_b32_e32 v61, 0x80000000, v11
	v_xor_b32_e32 v60, 0x80000000, v10
	v_pk_fma_f32 v[76:77], v[76:77], s[86:87], v[78:79] op_sel_hi:[1,0,1]
	v_xor_b32_e32 v79, 0x80000000, v63
	v_xor_b32_e32 v78, 0x80000000, v62
	v_pk_fma_f32 v[72:73], v[60:61], s[84:85], v[74:75] op_sel_hi:[1,0,1]
	v_pk_fma_f32 v[76:77], v[62:63], s[42:43], v[76:77]
	v_pk_fma_f32 v[78:79], v[78:79], s[38:39], v[72:73]
	v_pk_fma_f32 v[92:93], v[20:21], s[70:71], v[92:93] op_sel_hi:[1,0,1]
	v_pk_fma_f32 v[78:79], v[22:23], s[70:71], v[78:79] op_sel_hi:[1,0,1]
	v_pk_fma_f32 v[56:57], v[56:57], s[40:41], v[92:93]
	v_pk_fma_f32 v[76:77], s[70:71], v[18:19], v[76:77] op_sel_hi:[0,1,1] neg_lo:[1,0,0] neg_hi:[1,0,0]
	v_pk_fma_f32 v[58:59], v[58:59], s[42:43], v[78:79]
	v_xor_b32_e32 v79, 0x80000000, v31
	v_xor_b32_e32 v78, 0x80000000, v30
	s_waitcnt vmcnt(1)
	v_pk_fma_f32 v[76:77], s[6:7], v[66:67], v[76:77]
	v_pk_fma_f32 v[56:57], v[16:17], s[86:87], v[56:57] op_sel_hi:[1,0,1] neg_lo:[1,0,0] neg_hi:[1,0,0]
	v_subrev_u32_e32 v60, 28, v88
	v_pk_fma_f32 v[76:77], v[78:79], s[82:83], v[76:77] op_sel_hi:[1,0,1]
	s_waitcnt vmcnt(0)
	v_pk_fma_f32 v[56:57], v[68:69], s[44:45], v[56:57] neg_lo:[1,0,0] neg_hi:[1,0,0]
	v_ashrrev_i32_e32 v61, 31, v60
	v_xor_b32_e32 v79, 0x80000000, v71
	v_xor_b32_e32 v78, 0x80000000, v70
	v_pk_fma_f32 v[70:71], v[70:71], s[10:11], v[76:77]
	v_xor_b32_e32 v77, 0x80000000, v19
	v_xor_b32_e32 v76, 0x80000000, v18
	v_pk_fma_f32 v[56:57], v[28:29], s[74:75], v[56:57] op_sel_hi:[1,0,1]
	v_lshlrev_b64 v[60:61], 4, v[60:61]
	v_pk_fma_f32 v[58:59], v[76:77], s[86:87], v[58:59] op_sel_hi:[1,0,1]
	v_pk_fma_f32 v[76:77], v[64:65], s[46:47], v[56:57]
	v_add_u32_e32 v56, -14, v88
	v_add_co_u32_e32 v74, vcc, s0, v60
	v_ashrrev_i32_e32 v57, 31, v56
	v_addc_co_u32_e32 v75, vcc, v85, v61, vcc
	v_pk_fma_f32 v[92:93], s[70:71], v[16:17], v[94:95] op_sel_hi:[0,1,1] neg_lo:[1,0,0] neg_hi:[1,0,0]
	v_lshlrev_b64 v[56:57], 4, v[56:57]
	global_load_dwordx4 v[60:63], v[74:75], off offset:16
	v_pk_fma_f32 v[92:93], s[44:45], v[64:65], v[92:93]
	v_pk_fma_f32 v[58:59], v[78:79], s[6:7], v[58:59]
	v_add_co_u32_e32 v64, vcc, s0, v56
	v_pk_fma_f32 v[58:59], v[30:31], s[74:75], v[58:59] op_sel_hi:[1,0,1]
	v_addc_co_u32_e32 v65, vcc, v85, v57, vcc
	v_pk_fma_f32 v[78:79], v[66:67], s[10:11], v[58:59]
	global_load_dwordx4 v[56:59], v[64:65], off offset:16
	v_pk_fma_f32 v[92:93], v[28:29], s[82:83], v[92:93] op_sel_hi:[1,0,1] neg_lo:[1,0,0] neg_hi:[1,0,0]
	global_load_dwordx4 v[72:75], v[74:75], off
	v_pk_fma_f32 v[68:69], v[68:69], s[46:47], v[92:93]
	global_load_dwordx4 v[64:67], v[64:65], off
	v_pk_fma_f32 v[68:69], s[74:75], v[24:25], v[68:69] op_sel_hi:[0,1,1] neg_lo:[1,0,0] neg_hi:[1,0,0]
	v_pk_fma_f32 v[70:71], s[74:75], v[26:27], v[70:71] op_sel_hi:[0,1,1] neg_lo:[1,0,0] neg_hi:[1,0,0]
	v_xor_b32_e32 v93, 0x80000000, v39
	v_xor_b32_e32 v92, 0x80000000, v38
	v_pk_fma_f32 v[76:77], v[24:25], s[82:83], v[76:77] op_sel_hi:[1,0,1] neg_lo:[1,0,0] neg_hi:[1,0,0]
	s_waitcnt vmcnt(3)
	v_pk_fma_f32 v[68:69], s[48:49], v[60:61], v[68:69]
	v_pk_fma_f32 v[70:71], s[50:51], v[62:63], v[70:71]
	v_pk_fma_f32 v[68:69], v[36:37], s[72:73], v[68:69] op_sel_hi:[1,0,1] neg_lo:[1,0,0] neg_hi:[1,0,0]
	v_pk_fma_f32 v[70:71], v[92:93], s[72:73], v[70:71] op_sel_hi:[1,0,1]
	s_waitcnt vmcnt(1)
	v_pk_fma_f32 v[98:99], v[72:73], s[52:53], v[68:69]
	v_lshlrev_b64 v[68:69], 4, v[88:89]
	v_xor_b32_e32 v92, 0x80000000, v74
	v_pk_fma_f32 v[94:95], v[74:75], s[54:55], v[70:71]
	v_add_co_u32_e32 v74, vcc, s0, v68
	v_xor_b32_e32 v93, 0x80000000, v75
	v_addc_co_u32_e32 v75, vcc, v85, v69, vcc
	v_pk_fma_f32 v[76:77], v[72:73], s[48:49], v[76:77] neg_lo:[1,0,0] neg_hi:[1,0,0]
	v_xor_b32_e32 v73, 0x80000000, v27
	v_xor_b32_e32 v72, 0x80000000, v26
	global_load_dwordx4 v[68:71], v[74:75], off offset:16
	v_pk_fma_f32 v[78:79], v[72:73], s[82:83], v[78:79] op_sel_hi:[1,0,1]
	global_load_dwordx4 v[72:75], v[74:75], off
	v_pk_fma_f32 v[78:79], v[92:93], s[50:51], v[78:79]
	v_pk_fma_f32 v[78:79], v[38:39], s[76:77], v[78:79] op_sel_hi:[1,0,1]
	v_pk_fma_f32 v[76:77], v[36:37], s[76:77], v[76:77] op_sel_hi:[1,0,1]
	v_pk_fma_f32 v[62:63], v[62:63], s[54:55], v[78:79]
	v_pk_fma_f32 v[78:79], s[76:77], v[34:35], v[94:95] op_sel_hi:[0,1,1] neg_lo:[1,0,0] neg_hi:[1,0,0]
	v_pk_fma_f32 v[60:61], v[60:61], s[52:53], v[76:77]
	v_xor_b32_e32 v77, 0x80000000, v47
	v_xor_b32_e32 v76, 0x80000000, v46
	v_pk_fma_f32 v[78:79], s[56:57], v[58:59], v[78:79]
	v_pk_fma_f32 v[76:77], v[76:77], s[68:69], v[78:79] op_sel_hi:[1,0,1]
	s_waitcnt vmcnt(2)
	v_xor_b32_e32 v79, 0x80000000, v67
	v_xor_b32_e32 v78, 0x80000000, v66
	v_pk_fma_f32 v[66:67], v[66:67], s[58:59], v[76:77]
	v_xor_b32_e32 v77, 0x80000000, v35
	v_xor_b32_e32 v76, 0x80000000, v34
	v_pk_fma_f32 v[92:93], s[76:77], v[32:33], v[98:99] op_sel_hi:[0,1,1] neg_lo:[1,0,0] neg_hi:[1,0,0]
	v_pk_fma_f32 v[62:63], v[76:77], s[72:73], v[62:63] op_sel_hi:[1,0,1]
	v_pk_fma_f32 v[60:61], v[32:33], s[72:73], v[60:61] op_sel_hi:[1,0,1] neg_lo:[1,0,0] neg_hi:[1,0,0]
	v_pk_fma_f32 v[92:93], s[14:15], v[56:57], v[92:93]
	v_pk_fma_f32 v[62:63], v[78:79], s[56:57], v[62:63]
	v_pk_fma_f32 v[60:61], v[64:65], s[14:15], v[60:61] neg_lo:[1,0,0] neg_hi:[1,0,0]
	v_pk_fma_f32 v[92:93], v[44:45], s[68:69], v[92:93] op_sel_hi:[1,0,1] neg_lo:[1,0,0] neg_hi:[1,0,0]
	v_pk_fma_f32 v[62:63], v[46:47], s[78:79], v[62:63] op_sel_hi:[1,0,1]
	v_pk_fma_f32 v[64:65], v[64:65], s[22:23], v[92:93]
	v_pk_fma_f32 v[60:61], v[44:45], s[78:79], v[60:61] op_sel_hi:[1,0,1]
	v_pk_fma_f32 v[58:59], v[58:59], s[58:59], v[62:63]
	v_pk_fma_f32 v[62:63], s[78:79], v[42:43], v[66:67] op_sel_hi:[0,1,1] neg_lo:[1,0,0] neg_hi:[1,0,0]
	v_pk_fma_f32 v[56:57], v[56:57], s[22:23], v[60:61]
	v_xor_b32_e32 v61, 0x80000000, v55
	v_xor_b32_e32 v60, 0x80000000, v54
	v_pk_fma_f32 v[64:65], s[78:79], v[40:41], v[64:65] op_sel_hi:[0,1,1] neg_lo:[1,0,0] neg_hi:[1,0,0]
	v_xor_b32_e32 v67, 0x80000000, v43
	v_xor_b32_e32 v66, 0x80000000, v42
	v_pk_fma_f32 v[56:57], v[40:41], s[68:69], v[56:57] op_sel_hi:[1,0,1] neg_lo:[1,0,0] neg_hi:[1,0,0]
	v_pk_fma_f32 v[58:59], v[66:67], s[68:69], v[58:59] op_sel_hi:[1,0,1]
	v_add_co_u32_e32 v90, vcc, 32, v90
	v_addc_co_u32_e32 v91, vcc, 0, v91, vcc
	v_add_u32_e32 v88, 2, v88
	s_waitcnt vmcnt(1)
	v_pk_fma_f32 v[62:63], s[60:61], v[70:71], v[62:63]
	v_pk_fma_f32 v[60:61], v[60:61], s[66:67], v[62:63] op_sel_hi:[1,0,1]
	s_waitcnt vmcnt(0)
	v_xor_b32_e32 v63, 0x80000000, v75
	v_xor_b32_e32 v62, 0x80000000, v74
	v_pk_fma_f32 v[64:65], s[18:19], v[68:69], v[64:65]
	v_pk_fma_f32 v[56:57], v[72:73], s[18:19], v[56:57] neg_lo:[1,0,0] neg_hi:[1,0,0]
	v_pk_fma_f32 v[64:65], v[52:53], s[66:67], v[64:65] op_sel_hi:[1,0,1] neg_lo:[1,0,0] neg_hi:[1,0,0]
	v_pk_fma_f32 v[58:59], v[62:63], s[60:61], v[58:59]
	v_pk_fma_f32 v[60:61], v[74:75], s[62:63], v[60:61]
	;; [unrolled: 1-line block ×3, first 2 shown]
	v_pk_fma_f32 v[56:57], v[52:53], s[80:81], v[56:57] op_sel_hi:[1,0,1]
	v_pk_fma_f32 v[58:59], v[54:55], s[80:81], v[58:59] op_sel_hi:[1,0,1]
	v_pk_fma_f32 v[62:63], v[68:69], s[4:5], v[56:57]
	v_pk_fma_f32 v[66:67], v[70:71], s[62:63], v[58:59]
	v_pk_fma_f32 v[58:59], s[80:81], v[50:51], v[60:61] op_sel_hi:[0,1,1] neg_lo:[1,0,0] neg_hi:[1,0,0]
	v_pk_fma_f32 v[56:57], s[80:81], v[48:49], v[64:65] op_sel_hi:[0,1,1] neg_lo:[1,0,0] neg_hi:[1,0,0]
	global_store_dwordx4 v[86:87], v[56:59], off offset:-16
	s_nop 0
	v_xor_b32_e32 v57, 0x80000000, v51
	v_xor_b32_e32 v56, 0x80000000, v50
	v_pk_fma_f32 v[58:59], v[56:57], s[66:67], v[66:67] op_sel_hi:[1,0,1]
	v_pk_fma_f32 v[56:57], v[48:49], s[66:67], v[62:63] op_sel_hi:[1,0,1] neg_lo:[1,0,0] neg_hi:[1,0,0]
	global_store_dwordx4 v[86:87], v[56:59], off
	v_add_co_u32_e32 v86, vcc, 32, v86
	v_addc_co_u32_e32 v87, vcc, 0, v87, vcc
	s_cbranch_scc1 .LBB21_2
; %bb.3:                                ;   in Loop: Header=BB21_1 Depth=1
	s_add_i32 s69, s69, 1
	s_cmp_eq_u32 s69, 7
	v_add_u32_e32 v84, 14, v84
	s_cbranch_scc0 .LBB21_1
; %bb.4:
	s_endpgm
	.section	.rodata,"a",@progbits
	.p2align	6, 0x0
	.amdhsa_kernel _Z34comm_manual_aosoa_constants_directPK15HIP_vector_typeIfLj2EEPS0_S2_
		.amdhsa_group_segment_fixed_size 0
		.amdhsa_private_segment_fixed_size 0
		.amdhsa_kernarg_size 280
		.amdhsa_user_sgpr_count 6
		.amdhsa_user_sgpr_private_segment_buffer 1
		.amdhsa_user_sgpr_dispatch_ptr 0
		.amdhsa_user_sgpr_queue_ptr 0
		.amdhsa_user_sgpr_kernarg_segment_ptr 1
		.amdhsa_user_sgpr_dispatch_id 0
		.amdhsa_user_sgpr_flat_scratch_init 0
		.amdhsa_user_sgpr_kernarg_preload_length 0
		.amdhsa_user_sgpr_kernarg_preload_offset 0
		.amdhsa_user_sgpr_private_segment_size 0
		.amdhsa_uses_dynamic_stack 0
		.amdhsa_system_sgpr_private_segment_wavefront_offset 0
		.amdhsa_system_sgpr_workgroup_id_x 1
		.amdhsa_system_sgpr_workgroup_id_y 0
		.amdhsa_system_sgpr_workgroup_id_z 0
		.amdhsa_system_sgpr_workgroup_info 0
		.amdhsa_system_vgpr_workitem_id 0
		.amdhsa_next_free_vgpr 100
		.amdhsa_next_free_sgpr 88
		.amdhsa_accum_offset 100
		.amdhsa_reserve_vcc 1
		.amdhsa_reserve_flat_scratch 0
		.amdhsa_float_round_mode_32 0
		.amdhsa_float_round_mode_16_64 0
		.amdhsa_float_denorm_mode_32 3
		.amdhsa_float_denorm_mode_16_64 3
		.amdhsa_dx10_clamp 1
		.amdhsa_ieee_mode 1
		.amdhsa_fp16_overflow 0
		.amdhsa_tg_split 0
		.amdhsa_exception_fp_ieee_invalid_op 0
		.amdhsa_exception_fp_denorm_src 0
		.amdhsa_exception_fp_ieee_div_zero 0
		.amdhsa_exception_fp_ieee_overflow 0
		.amdhsa_exception_fp_ieee_underflow 0
		.amdhsa_exception_fp_ieee_inexact 0
		.amdhsa_exception_int_div_zero 0
	.end_amdhsa_kernel
	.text
.Lfunc_end21:
	.size	_Z34comm_manual_aosoa_constants_directPK15HIP_vector_typeIfLj2EEPS0_S2_, .Lfunc_end21-_Z34comm_manual_aosoa_constants_directPK15HIP_vector_typeIfLj2EEPS0_S2_
                                        ; -- End function
	.section	.AMDGPU.csdata,"",@progbits
; Kernel info:
; codeLenInByte = 2532
; NumSgprs: 92
; NumVgprs: 100
; NumAgprs: 0
; TotalNumVgprs: 100
; ScratchSize: 0
; MemoryBound: 1
; FloatMode: 240
; IeeeMode: 1
; LDSByteSize: 0 bytes/workgroup (compile time only)
; SGPRBlocks: 11
; VGPRBlocks: 12
; NumSGPRsForWavesPerEU: 92
; NumVGPRsForWavesPerEU: 100
; AccumOffset: 100
; Occupancy: 4
; WaveLimiterHint : 1
; COMPUTE_PGM_RSRC2:SCRATCH_EN: 0
; COMPUTE_PGM_RSRC2:USER_SGPR: 6
; COMPUTE_PGM_RSRC2:TRAP_HANDLER: 0
; COMPUTE_PGM_RSRC2:TGID_X_EN: 1
; COMPUTE_PGM_RSRC2:TGID_Y_EN: 0
; COMPUTE_PGM_RSRC2:TGID_Z_EN: 0
; COMPUTE_PGM_RSRC2:TIDIG_COMP_CNT: 0
; COMPUTE_PGM_RSRC3_GFX90A:ACCUM_OFFSET: 24
; COMPUTE_PGM_RSRC3_GFX90A:TG_SPLIT: 0
	.text
	.protected	_Z43comm_manual_aosoa_constants_direct_prefetchPK15HIP_vector_typeIfLj2EEPS0_S2_ ; -- Begin function _Z43comm_manual_aosoa_constants_direct_prefetchPK15HIP_vector_typeIfLj2EEPS0_S2_
	.globl	_Z43comm_manual_aosoa_constants_direct_prefetchPK15HIP_vector_typeIfLj2EEPS0_S2_
	.p2align	8
	.type	_Z43comm_manual_aosoa_constants_direct_prefetchPK15HIP_vector_typeIfLj2EEPS0_S2_,@function
_Z43comm_manual_aosoa_constants_direct_prefetchPK15HIP_vector_typeIfLj2EEPS0_S2_: ; @_Z43comm_manual_aosoa_constants_direct_prefetchPK15HIP_vector_typeIfLj2EEPS0_S2_
; %bb.0:
	s_load_dword s7, s[4:5], 0x24
	s_load_dwordx4 s[0:3], s[4:5], 0x0
	s_load_dwordx2 s[12:13], s[4:5], 0x10
	s_mov_b32 s69, 0
	s_waitcnt lgkmcnt(0)
	s_and_b32 s4, s7, 0xffff
	s_mul_i32 s6, s6, s4
	v_add_u32_e32 v0, s6, v0
	s_movk_i32 s4, 0x62
	v_mul_lo_u32 v80, v0, s4
	v_ashrrev_i32_e32 v81, 31, v80
	v_lshlrev_b64 v[0:1], 4, v[80:81]
	v_mov_b32_e32 v2, s1
	v_add_co_u32_e32 v0, vcc, s0, v0
	v_addc_co_u32_e32 v1, vcc, v1, v2, vcc
	s_add_u32 s33, s2, 16
	v_add_co_u32_e32 v82, vcc, 16, v0
	s_addc_u32 s2, s3, 0
	v_addc_co_u32_e32 v83, vcc, 0, v1, vcc
	v_add_u32_e32 v81, 0x54, v80
	s_mov_b32 s3, 0
	v_mov_b32_e32 v96, s2
	v_mov_b32_e32 v97, s1
	;; [unrolled: 1-line block ×3, first 2 shown]
.LBB22_1:                               ; =>This Loop Header: Depth=1
                                        ;     Child Loop BB22_2 Depth 2
	s_mul_i32 s2, s69, 7
	s_lshl_b64 s[4:5], s[2:3], 2
	s_add_u32 s22, s12, s4
	s_addc_u32 s23, s13, s5
	v_mad_u64_u32 v[0:1], s[4:5], s69, 14, v[80:81]
	v_ashrrev_i32_e32 v1, 31, v0
	v_lshlrev_b64 v[0:1], 4, v[0:1]
	v_add_co_u32_e32 v8, vcc, s0, v0
	v_addc_co_u32_e32 v9, vcc, v97, v1, vcc
	s_lshl_b32 s2, s2, 1
	global_load_dwordx4 v[0:3], v[8:9], off offset:16
	global_load_dwordx4 v[4:7], v[8:9], off
	v_add3_u32 v8, s2, 2, v80
	v_ashrrev_i32_e32 v9, 31, v8
	v_lshlrev_b64 v[8:9], 4, v[8:9]
	v_add_co_u32_e32 v16, vcc, s0, v8
	v_addc_co_u32_e32 v17, vcc, v97, v9, vcc
	global_load_dwordx4 v[8:11], v[16:17], off offset:16
	global_load_dwordx4 v[12:15], v[16:17], off
	v_add3_u32 v16, s2, 4, v80
	v_ashrrev_i32_e32 v17, 31, v16
	v_lshlrev_b64 v[16:17], 4, v[16:17]
	v_add_co_u32_e32 v24, vcc, s0, v16
	v_addc_co_u32_e32 v25, vcc, v97, v17, vcc
	;; [unrolled: 7-line block ×4, first 2 shown]
	global_load_dwordx4 v[32:35], v[40:41], off offset:16
	global_load_dwordx4 v[36:39], v[40:41], off
	v_add3_u32 v40, s2, 10, v80
	v_ashrrev_i32_e32 v41, 31, v40
	v_lshlrev_b64 v[40:41], 4, v[40:41]
	v_add_co_u32_e32 v52, vcc, s0, v40
	v_add3_u32 v40, s2, 12, v80
	v_addc_co_u32_e32 v53, vcc, v97, v41, vcc
	v_ashrrev_i32_e32 v41, 31, v40
	v_lshlrev_b64 v[40:41], 4, v[40:41]
	v_add_co_u32_e32 v54, vcc, s0, v40
	v_addc_co_u32_e32 v55, vcc, v97, v41, vcc
	global_load_dwordx4 v[40:43], v[52:53], off offset:16
	global_load_dwordx4 v[44:47], v[52:53], off
	global_load_dwordx4 v[48:51], v[54:55], off offset:16
                                        ; kill: killed $vgpr52 killed $vgpr53
	s_nop 0
	global_load_dwordx4 v[52:55], v[54:55], off
	s_load_dwordx4 s[4:7], s[22:23], 0x0
	s_load_dwordx2 s[14:15], s[22:23], 0x10
	s_load_dword s18, s[22:23], 0x18
	s_load_dwordx4 s[8:11], s[22:23], 0xc4
	v_ashrrev_i32_e32 v85, 31, v84
	v_lshlrev_b64 v[56:57], 4, v[84:85]
	s_waitcnt lgkmcnt(0)
	s_mov_b32 s16, s4
	s_mov_b32 s17, s4
	;; [unrolled: 1-line block ×4, first 2 shown]
	s_load_dword s4, s[22:23], 0xdc
	s_nop 0
	s_load_dwordx2 s[22:23], s[22:23], 0xd4
	v_add_co_u32_e32 v86, vcc, s33, v56
	v_addc_co_u32_e32 v87, vcc, v96, v57, vcc
	s_mov_b32 s24, s8
	s_mov_b32 s25, s8
	;; [unrolled: 1-line block ×29, first 2 shown]
	s_waitcnt lgkmcnt(0)
	s_mov_b32 s52, s22
	s_mov_b32 s53, s22
	;; [unrolled: 1-line block ×16, first 2 shown]
	s_mov_b64 s[64:65], 0
	v_mov_b32_e32 v88, v81
	v_pk_mov_b32 v[90:91], v[82:83], v[82:83] op_sel:[0,1]
.LBB22_2:                               ;   Parent Loop BB22_1 Depth=1
                                        ; =>  This Inner Loop Header: Depth=2
	global_load_dwordx4 v[56:59], v[90:91], off offset:-16
	global_load_dwordx4 v[64:67], v[86:87], off
	global_load_dwordx4 v[68:71], v[86:87], off offset:-16
	global_load_dwordx4 v[60:63], v[90:91], off
	v_add_u32_e32 v72, 0xffffffba, v88
	v_ashrrev_i32_e32 v73, 31, v72
	v_lshlrev_b64 v[72:73], 4, v[72:73]
	v_mov_b32_e32 v85, s1
	v_add_co_u32_e32 v76, vcc, s0, v72
	v_addc_co_u32_e32 v77, vcc, v85, v73, vcc
	global_load_dwordx4 v[72:75], v[76:77], off offset:16
	s_nop 0
	global_load_dwordx4 v[76:79], v[76:77], off
	s_add_u32 s66, s12, s64
	s_waitcnt vmcnt(18)
	v_xor_b32_e32 v95, 0x80000000, v7
	v_xor_b32_e32 v94, 0x80000000, v6
	s_addc_u32 s67, s13, s65
	s_load_dword s68, s[66:67], 0xc4
	s_load_dword s72, s[66:67], 0x0
	;; [unrolled: 1-line block ×8, first 2 shown]
	v_ashrrev_i32_e32 v89, 31, v88
	s_add_u32 s64, s64, 4
	s_addc_u32 s65, s65, 0
	s_cmp_lg_u32 s64, 28
	s_waitcnt vmcnt(5)
	v_xor_b32_e32 v93, 0x80000000, v59
	v_xor_b32_e32 v92, 0x80000000, v58
	s_waitcnt vmcnt(4)
	v_pk_fma_f32 v[66:67], v[92:93], s[20:21], v[66:67]
	s_waitcnt vmcnt(2)
	v_pk_fma_f32 v[70:71], s[20:21], v[62:63], v[70:71]
	v_pk_fma_f32 v[68:69], s[16:17], v[60:61], v[68:69]
	s_waitcnt lgkmcnt(0)
	v_pk_fma_f32 v[70:71], v[94:95], s[68:69], v[70:71] op_sel_hi:[1,0,1]
	v_subrev_u32_e32 v94, 56, v88
	v_pk_fma_f32 v[68:69], v[4:5], s[68:69], v[68:69] op_sel_hi:[1,0,1] neg_lo:[1,0,0] neg_hi:[1,0,0]
	v_ashrrev_i32_e32 v95, 31, v94
	v_pk_fma_f32 v[92:93], v[56:57], s[16:17], v[64:65] neg_lo:[1,0,0] neg_hi:[1,0,0]
	v_pk_fma_f32 v[58:59], v[58:59], s[26:27], v[70:71]
	v_pk_fma_f32 v[56:57], v[56:57], s[24:25], v[68:69]
	v_subrev_u32_e32 v68, 42, v88
	v_lshlrev_b64 v[70:71], 4, v[94:95]
	v_ashrrev_i32_e32 v69, 31, v68
	v_add_co_u32_e32 v70, vcc, s0, v70
	v_pk_fma_f32 v[92:93], v[4:5], s[72:73], v[92:93] op_sel_hi:[1,0,1]
	v_pk_fma_f32 v[66:67], v[6:7], s[72:73], v[66:67] op_sel_hi:[1,0,1]
	v_pk_fma_f32 v[58:59], s[72:73], v[2:3], v[58:59] op_sel_hi:[0,1,1] neg_lo:[1,0,0] neg_hi:[1,0,0]
	v_pk_fma_f32 v[56:57], s[72:73], v[0:1], v[56:57] op_sel_hi:[0,1,1] neg_lo:[1,0,0] neg_hi:[1,0,0]
	v_xor_b32_e32 v65, 0x80000000, v15
	v_xor_b32_e32 v64, 0x80000000, v14
	v_lshlrev_b64 v[68:69], 4, v[68:69]
	v_addc_co_u32_e32 v71, vcc, v85, v71, vcc
	v_xor_b32_e32 v95, 0x80000000, v3
	v_xor_b32_e32 v94, 0x80000000, v2
	v_pk_fma_f32 v[60:61], v[60:61], s[24:25], v[92:93]
	v_pk_fma_f32 v[62:63], v[62:63], s[26:27], v[66:67]
	s_waitcnt vmcnt(1)
	v_pk_fma_f32 v[58:59], s[30:31], v[74:75], v[58:59]
	v_pk_fma_f32 v[56:57], s[28:29], v[72:73], v[56:57]
	v_add_co_u32_e32 v68, vcc, s0, v68
	v_pk_fma_f32 v[60:61], v[0:1], s[68:69], v[60:61] op_sel_hi:[1,0,1] neg_lo:[1,0,0] neg_hi:[1,0,0]
	v_pk_fma_f32 v[62:63], v[94:95], s[68:69], v[62:63] op_sel_hi:[1,0,1]
	s_load_dword s84, s[66:67], 0xe0
	s_load_dword s86, s[66:67], 0xfc
	;; [unrolled: 1-line block ×5, first 2 shown]
	s_nop 0
	s_load_dword s66, s[66:67], 0x16c
	s_waitcnt vmcnt(0)
	v_xor_b32_e32 v67, 0x80000000, v79
	v_xor_b32_e32 v66, 0x80000000, v78
	s_waitcnt lgkmcnt(0)
	v_pk_fma_f32 v[58:59], v[64:65], s[84:85], v[58:59] op_sel_hi:[1,0,1]
	v_pk_fma_f32 v[56:57], v[12:13], s[84:85], v[56:57] op_sel_hi:[1,0,1] neg_lo:[1,0,0] neg_hi:[1,0,0]
	v_addc_co_u32_e32 v69, vcc, v85, v69, vcc
	v_pk_fma_f32 v[60:61], v[76:77], s[28:29], v[60:61] neg_lo:[1,0,0] neg_hi:[1,0,0]
	v_pk_fma_f32 v[62:63], v[66:67], s[30:31], v[62:63]
	v_pk_fma_f32 v[58:59], v[78:79], s[8:9], v[58:59]
	v_pk_fma_f32 v[56:57], v[76:77], s[34:35], v[56:57]
	v_pk_fma_f32 v[92:93], v[12:13], s[2:3], v[60:61] op_sel_hi:[1,0,1]
	v_pk_fma_f32 v[76:77], v[14:15], s[2:3], v[62:63] op_sel_hi:[1,0,1]
	v_pk_fma_f32 v[78:79], s[2:3], v[10:11], v[58:59] op_sel_hi:[0,1,1] neg_lo:[1,0,0] neg_hi:[1,0,0]
	v_pk_fma_f32 v[94:95], s[2:3], v[8:9], v[56:57] op_sel_hi:[0,1,1] neg_lo:[1,0,0] neg_hi:[1,0,0]
	global_load_dwordx4 v[56:59], v[70:71], off offset:16
	global_load_dwordx4 v[60:63], v[70:71], off
	global_load_dwordx4 v[64:67], v[68:69], off offset:16
	s_nop 0
	global_load_dwordx4 v[68:71], v[68:69], off
	v_pk_fma_f32 v[72:73], v[72:73], s[34:35], v[92:93]
	v_pk_fma_f32 v[72:73], v[8:9], s[84:85], v[72:73] op_sel_hi:[1,0,1] neg_lo:[1,0,0] neg_hi:[1,0,0]
	v_pk_fma_f32 v[74:75], v[74:75], s[8:9], v[76:77]
	v_xor_b32_e32 v77, 0x80000000, v23
	v_xor_b32_e32 v76, 0x80000000, v22
	s_waitcnt vmcnt(3)
	v_pk_fma_f32 v[78:79], s[38:39], v[58:59], v[78:79]
	s_waitcnt vmcnt(2)
	v_pk_fma_f32 v[92:93], v[60:61], s[36:37], v[72:73] neg_lo:[1,0,0] neg_hi:[1,0,0]
	v_pk_fma_f32 v[72:73], s[36:37], v[56:57], v[94:95]
	v_pk_fma_f32 v[72:73], v[20:21], s[86:87], v[72:73] op_sel_hi:[1,0,1] neg_lo:[1,0,0] neg_hi:[1,0,0]
	v_pk_fma_f32 v[94:95], v[60:61], s[40:41], v[72:73]
	v_xor_b32_e32 v61, 0x80000000, v11
	v_xor_b32_e32 v60, 0x80000000, v10
	v_pk_fma_f32 v[76:77], v[76:77], s[86:87], v[78:79] op_sel_hi:[1,0,1]
	v_xor_b32_e32 v79, 0x80000000, v63
	v_xor_b32_e32 v78, 0x80000000, v62
	v_pk_fma_f32 v[72:73], v[60:61], s[84:85], v[74:75] op_sel_hi:[1,0,1]
	v_pk_fma_f32 v[76:77], v[62:63], s[42:43], v[76:77]
	v_pk_fma_f32 v[78:79], v[78:79], s[38:39], v[72:73]
	v_pk_fma_f32 v[92:93], v[20:21], s[70:71], v[92:93] op_sel_hi:[1,0,1]
	v_pk_fma_f32 v[78:79], v[22:23], s[70:71], v[78:79] op_sel_hi:[1,0,1]
	v_pk_fma_f32 v[56:57], v[56:57], s[40:41], v[92:93]
	v_pk_fma_f32 v[76:77], s[70:71], v[18:19], v[76:77] op_sel_hi:[0,1,1] neg_lo:[1,0,0] neg_hi:[1,0,0]
	v_pk_fma_f32 v[58:59], v[58:59], s[42:43], v[78:79]
	v_xor_b32_e32 v79, 0x80000000, v31
	v_xor_b32_e32 v78, 0x80000000, v30
	s_waitcnt vmcnt(1)
	v_pk_fma_f32 v[76:77], s[6:7], v[66:67], v[76:77]
	v_pk_fma_f32 v[56:57], v[16:17], s[86:87], v[56:57] op_sel_hi:[1,0,1] neg_lo:[1,0,0] neg_hi:[1,0,0]
	v_subrev_u32_e32 v60, 28, v88
	v_pk_fma_f32 v[76:77], v[78:79], s[82:83], v[76:77] op_sel_hi:[1,0,1]
	s_waitcnt vmcnt(0)
	v_pk_fma_f32 v[56:57], v[68:69], s[44:45], v[56:57] neg_lo:[1,0,0] neg_hi:[1,0,0]
	v_ashrrev_i32_e32 v61, 31, v60
	v_xor_b32_e32 v79, 0x80000000, v71
	v_xor_b32_e32 v78, 0x80000000, v70
	v_pk_fma_f32 v[70:71], v[70:71], s[10:11], v[76:77]
	v_xor_b32_e32 v77, 0x80000000, v19
	v_xor_b32_e32 v76, 0x80000000, v18
	v_pk_fma_f32 v[56:57], v[28:29], s[74:75], v[56:57] op_sel_hi:[1,0,1]
	v_lshlrev_b64 v[60:61], 4, v[60:61]
	v_pk_fma_f32 v[58:59], v[76:77], s[86:87], v[58:59] op_sel_hi:[1,0,1]
	v_pk_fma_f32 v[76:77], v[64:65], s[46:47], v[56:57]
	v_add_u32_e32 v56, -14, v88
	v_add_co_u32_e32 v74, vcc, s0, v60
	v_ashrrev_i32_e32 v57, 31, v56
	v_addc_co_u32_e32 v75, vcc, v85, v61, vcc
	v_pk_fma_f32 v[92:93], s[70:71], v[16:17], v[94:95] op_sel_hi:[0,1,1] neg_lo:[1,0,0] neg_hi:[1,0,0]
	v_lshlrev_b64 v[56:57], 4, v[56:57]
	global_load_dwordx4 v[60:63], v[74:75], off offset:16
	v_pk_fma_f32 v[92:93], s[44:45], v[64:65], v[92:93]
	v_pk_fma_f32 v[58:59], v[78:79], s[6:7], v[58:59]
	v_add_co_u32_e32 v64, vcc, s0, v56
	v_pk_fma_f32 v[58:59], v[30:31], s[74:75], v[58:59] op_sel_hi:[1,0,1]
	v_addc_co_u32_e32 v65, vcc, v85, v57, vcc
	v_pk_fma_f32 v[78:79], v[66:67], s[10:11], v[58:59]
	global_load_dwordx4 v[56:59], v[64:65], off offset:16
	v_pk_fma_f32 v[92:93], v[28:29], s[82:83], v[92:93] op_sel_hi:[1,0,1] neg_lo:[1,0,0] neg_hi:[1,0,0]
	global_load_dwordx4 v[72:75], v[74:75], off
	v_pk_fma_f32 v[68:69], v[68:69], s[46:47], v[92:93]
	global_load_dwordx4 v[64:67], v[64:65], off
	v_pk_fma_f32 v[68:69], s[74:75], v[24:25], v[68:69] op_sel_hi:[0,1,1] neg_lo:[1,0,0] neg_hi:[1,0,0]
	v_pk_fma_f32 v[70:71], s[74:75], v[26:27], v[70:71] op_sel_hi:[0,1,1] neg_lo:[1,0,0] neg_hi:[1,0,0]
	v_xor_b32_e32 v93, 0x80000000, v39
	v_xor_b32_e32 v92, 0x80000000, v38
	v_pk_fma_f32 v[76:77], v[24:25], s[82:83], v[76:77] op_sel_hi:[1,0,1] neg_lo:[1,0,0] neg_hi:[1,0,0]
	s_waitcnt vmcnt(3)
	v_pk_fma_f32 v[68:69], s[48:49], v[60:61], v[68:69]
	v_pk_fma_f32 v[70:71], s[50:51], v[62:63], v[70:71]
	v_pk_fma_f32 v[68:69], v[36:37], s[72:73], v[68:69] op_sel_hi:[1,0,1] neg_lo:[1,0,0] neg_hi:[1,0,0]
	v_pk_fma_f32 v[70:71], v[92:93], s[72:73], v[70:71] op_sel_hi:[1,0,1]
	s_waitcnt vmcnt(1)
	v_pk_fma_f32 v[98:99], v[72:73], s[52:53], v[68:69]
	v_lshlrev_b64 v[68:69], 4, v[88:89]
	v_xor_b32_e32 v92, 0x80000000, v74
	v_pk_fma_f32 v[94:95], v[74:75], s[54:55], v[70:71]
	v_add_co_u32_e32 v74, vcc, s0, v68
	v_xor_b32_e32 v93, 0x80000000, v75
	v_addc_co_u32_e32 v75, vcc, v85, v69, vcc
	v_pk_fma_f32 v[76:77], v[72:73], s[48:49], v[76:77] neg_lo:[1,0,0] neg_hi:[1,0,0]
	v_xor_b32_e32 v73, 0x80000000, v27
	v_xor_b32_e32 v72, 0x80000000, v26
	global_load_dwordx4 v[68:71], v[74:75], off offset:16
	v_pk_fma_f32 v[78:79], v[72:73], s[82:83], v[78:79] op_sel_hi:[1,0,1]
	global_load_dwordx4 v[72:75], v[74:75], off
	v_pk_fma_f32 v[78:79], v[92:93], s[50:51], v[78:79]
	v_pk_fma_f32 v[78:79], v[38:39], s[76:77], v[78:79] op_sel_hi:[1,0,1]
	v_pk_fma_f32 v[76:77], v[36:37], s[76:77], v[76:77] op_sel_hi:[1,0,1]
	v_pk_fma_f32 v[62:63], v[62:63], s[54:55], v[78:79]
	v_pk_fma_f32 v[78:79], s[76:77], v[34:35], v[94:95] op_sel_hi:[0,1,1] neg_lo:[1,0,0] neg_hi:[1,0,0]
	v_pk_fma_f32 v[60:61], v[60:61], s[52:53], v[76:77]
	v_xor_b32_e32 v77, 0x80000000, v47
	v_xor_b32_e32 v76, 0x80000000, v46
	v_pk_fma_f32 v[78:79], s[56:57], v[58:59], v[78:79]
	v_pk_fma_f32 v[76:77], v[76:77], s[68:69], v[78:79] op_sel_hi:[1,0,1]
	s_waitcnt vmcnt(2)
	v_xor_b32_e32 v79, 0x80000000, v67
	v_xor_b32_e32 v78, 0x80000000, v66
	v_pk_fma_f32 v[66:67], v[66:67], s[58:59], v[76:77]
	v_xor_b32_e32 v77, 0x80000000, v35
	v_xor_b32_e32 v76, 0x80000000, v34
	v_pk_fma_f32 v[92:93], s[76:77], v[32:33], v[98:99] op_sel_hi:[0,1,1] neg_lo:[1,0,0] neg_hi:[1,0,0]
	v_pk_fma_f32 v[62:63], v[76:77], s[72:73], v[62:63] op_sel_hi:[1,0,1]
	v_pk_fma_f32 v[60:61], v[32:33], s[72:73], v[60:61] op_sel_hi:[1,0,1] neg_lo:[1,0,0] neg_hi:[1,0,0]
	v_pk_fma_f32 v[92:93], s[14:15], v[56:57], v[92:93]
	v_pk_fma_f32 v[62:63], v[78:79], s[56:57], v[62:63]
	v_pk_fma_f32 v[60:61], v[64:65], s[14:15], v[60:61] neg_lo:[1,0,0] neg_hi:[1,0,0]
	v_pk_fma_f32 v[92:93], v[44:45], s[68:69], v[92:93] op_sel_hi:[1,0,1] neg_lo:[1,0,0] neg_hi:[1,0,0]
	v_pk_fma_f32 v[62:63], v[46:47], s[78:79], v[62:63] op_sel_hi:[1,0,1]
	v_pk_fma_f32 v[64:65], v[64:65], s[22:23], v[92:93]
	v_pk_fma_f32 v[60:61], v[44:45], s[78:79], v[60:61] op_sel_hi:[1,0,1]
	v_pk_fma_f32 v[58:59], v[58:59], s[58:59], v[62:63]
	v_pk_fma_f32 v[62:63], s[78:79], v[42:43], v[66:67] op_sel_hi:[0,1,1] neg_lo:[1,0,0] neg_hi:[1,0,0]
	v_pk_fma_f32 v[56:57], v[56:57], s[22:23], v[60:61]
	v_xor_b32_e32 v61, 0x80000000, v55
	v_xor_b32_e32 v60, 0x80000000, v54
	v_pk_fma_f32 v[64:65], s[78:79], v[40:41], v[64:65] op_sel_hi:[0,1,1] neg_lo:[1,0,0] neg_hi:[1,0,0]
	v_xor_b32_e32 v67, 0x80000000, v43
	v_xor_b32_e32 v66, 0x80000000, v42
	v_pk_fma_f32 v[56:57], v[40:41], s[68:69], v[56:57] op_sel_hi:[1,0,1] neg_lo:[1,0,0] neg_hi:[1,0,0]
	v_pk_fma_f32 v[58:59], v[66:67], s[68:69], v[58:59] op_sel_hi:[1,0,1]
	v_add_co_u32_e32 v90, vcc, 32, v90
	v_addc_co_u32_e32 v91, vcc, 0, v91, vcc
	v_add_u32_e32 v88, 2, v88
	s_waitcnt vmcnt(1)
	v_pk_fma_f32 v[62:63], s[60:61], v[70:71], v[62:63]
	v_pk_fma_f32 v[60:61], v[60:61], s[66:67], v[62:63] op_sel_hi:[1,0,1]
	s_waitcnt vmcnt(0)
	v_xor_b32_e32 v63, 0x80000000, v75
	v_xor_b32_e32 v62, 0x80000000, v74
	v_pk_fma_f32 v[64:65], s[18:19], v[68:69], v[64:65]
	v_pk_fma_f32 v[56:57], v[72:73], s[18:19], v[56:57] neg_lo:[1,0,0] neg_hi:[1,0,0]
	v_pk_fma_f32 v[64:65], v[52:53], s[66:67], v[64:65] op_sel_hi:[1,0,1] neg_lo:[1,0,0] neg_hi:[1,0,0]
	v_pk_fma_f32 v[58:59], v[62:63], s[60:61], v[58:59]
	v_pk_fma_f32 v[60:61], v[74:75], s[62:63], v[60:61]
	;; [unrolled: 1-line block ×3, first 2 shown]
	v_pk_fma_f32 v[56:57], v[52:53], s[80:81], v[56:57] op_sel_hi:[1,0,1]
	v_pk_fma_f32 v[58:59], v[54:55], s[80:81], v[58:59] op_sel_hi:[1,0,1]
	v_pk_fma_f32 v[62:63], v[68:69], s[4:5], v[56:57]
	v_pk_fma_f32 v[66:67], v[70:71], s[62:63], v[58:59]
	v_pk_fma_f32 v[58:59], s[80:81], v[50:51], v[60:61] op_sel_hi:[0,1,1] neg_lo:[1,0,0] neg_hi:[1,0,0]
	v_pk_fma_f32 v[56:57], s[80:81], v[48:49], v[64:65] op_sel_hi:[0,1,1] neg_lo:[1,0,0] neg_hi:[1,0,0]
	global_store_dwordx4 v[86:87], v[56:59], off offset:-16
	s_nop 0
	v_xor_b32_e32 v57, 0x80000000, v51
	v_xor_b32_e32 v56, 0x80000000, v50
	v_pk_fma_f32 v[58:59], v[56:57], s[66:67], v[66:67] op_sel_hi:[1,0,1]
	v_pk_fma_f32 v[56:57], v[48:49], s[66:67], v[62:63] op_sel_hi:[1,0,1] neg_lo:[1,0,0] neg_hi:[1,0,0]
	global_store_dwordx4 v[86:87], v[56:59], off
	v_add_co_u32_e32 v86, vcc, 32, v86
	v_addc_co_u32_e32 v87, vcc, 0, v87, vcc
	s_cbranch_scc1 .LBB22_2
; %bb.3:                                ;   in Loop: Header=BB22_1 Depth=1
	s_add_i32 s69, s69, 1
	s_cmp_eq_u32 s69, 7
	v_add_u32_e32 v84, 14, v84
	s_cbranch_scc0 .LBB22_1
; %bb.4:
	s_endpgm
	.section	.rodata,"a",@progbits
	.p2align	6, 0x0
	.amdhsa_kernel _Z43comm_manual_aosoa_constants_direct_prefetchPK15HIP_vector_typeIfLj2EEPS0_S2_
		.amdhsa_group_segment_fixed_size 0
		.amdhsa_private_segment_fixed_size 0
		.amdhsa_kernarg_size 280
		.amdhsa_user_sgpr_count 6
		.amdhsa_user_sgpr_private_segment_buffer 1
		.amdhsa_user_sgpr_dispatch_ptr 0
		.amdhsa_user_sgpr_queue_ptr 0
		.amdhsa_user_sgpr_kernarg_segment_ptr 1
		.amdhsa_user_sgpr_dispatch_id 0
		.amdhsa_user_sgpr_flat_scratch_init 0
		.amdhsa_user_sgpr_kernarg_preload_length 0
		.amdhsa_user_sgpr_kernarg_preload_offset 0
		.amdhsa_user_sgpr_private_segment_size 0
		.amdhsa_uses_dynamic_stack 0
		.amdhsa_system_sgpr_private_segment_wavefront_offset 0
		.amdhsa_system_sgpr_workgroup_id_x 1
		.amdhsa_system_sgpr_workgroup_id_y 0
		.amdhsa_system_sgpr_workgroup_id_z 0
		.amdhsa_system_sgpr_workgroup_info 0
		.amdhsa_system_vgpr_workitem_id 0
		.amdhsa_next_free_vgpr 100
		.amdhsa_next_free_sgpr 88
		.amdhsa_accum_offset 100
		.amdhsa_reserve_vcc 1
		.amdhsa_reserve_flat_scratch 0
		.amdhsa_float_round_mode_32 0
		.amdhsa_float_round_mode_16_64 0
		.amdhsa_float_denorm_mode_32 3
		.amdhsa_float_denorm_mode_16_64 3
		.amdhsa_dx10_clamp 1
		.amdhsa_ieee_mode 1
		.amdhsa_fp16_overflow 0
		.amdhsa_tg_split 0
		.amdhsa_exception_fp_ieee_invalid_op 0
		.amdhsa_exception_fp_denorm_src 0
		.amdhsa_exception_fp_ieee_div_zero 0
		.amdhsa_exception_fp_ieee_overflow 0
		.amdhsa_exception_fp_ieee_underflow 0
		.amdhsa_exception_fp_ieee_inexact 0
		.amdhsa_exception_int_div_zero 0
	.end_amdhsa_kernel
	.text
.Lfunc_end22:
	.size	_Z43comm_manual_aosoa_constants_direct_prefetchPK15HIP_vector_typeIfLj2EEPS0_S2_, .Lfunc_end22-_Z43comm_manual_aosoa_constants_direct_prefetchPK15HIP_vector_typeIfLj2EEPS0_S2_
                                        ; -- End function
	.section	.AMDGPU.csdata,"",@progbits
; Kernel info:
; codeLenInByte = 2532
; NumSgprs: 92
; NumVgprs: 100
; NumAgprs: 0
; TotalNumVgprs: 100
; ScratchSize: 0
; MemoryBound: 1
; FloatMode: 240
; IeeeMode: 1
; LDSByteSize: 0 bytes/workgroup (compile time only)
; SGPRBlocks: 11
; VGPRBlocks: 12
; NumSGPRsForWavesPerEU: 92
; NumVGPRsForWavesPerEU: 100
; AccumOffset: 100
; Occupancy: 4
; WaveLimiterHint : 1
; COMPUTE_PGM_RSRC2:SCRATCH_EN: 0
; COMPUTE_PGM_RSRC2:USER_SGPR: 6
; COMPUTE_PGM_RSRC2:TRAP_HANDLER: 0
; COMPUTE_PGM_RSRC2:TGID_X_EN: 1
; COMPUTE_PGM_RSRC2:TGID_Y_EN: 0
; COMPUTE_PGM_RSRC2:TGID_Z_EN: 0
; COMPUTE_PGM_RSRC2:TIDIG_COMP_CNT: 0
; COMPUTE_PGM_RSRC3_GFX90A:ACCUM_OFFSET: 24
; COMPUTE_PGM_RSRC3_GFX90A:TG_SPLIT: 0
	.text
	.protected	_Z39comm_manual_aosoa_constants_direct_permPK15HIP_vector_typeIfLj2EEPS0_S2_ ; -- Begin function _Z39comm_manual_aosoa_constants_direct_permPK15HIP_vector_typeIfLj2EEPS0_S2_
	.globl	_Z39comm_manual_aosoa_constants_direct_permPK15HIP_vector_typeIfLj2EEPS0_S2_
	.p2align	8
	.type	_Z39comm_manual_aosoa_constants_direct_permPK15HIP_vector_typeIfLj2EEPS0_S2_,@function
_Z39comm_manual_aosoa_constants_direct_permPK15HIP_vector_typeIfLj2EEPS0_S2_: ; @_Z39comm_manual_aosoa_constants_direct_permPK15HIP_vector_typeIfLj2EEPS0_S2_
; %bb.0:
	s_load_dword s7, s[4:5], 0x24
	s_load_dwordx4 s[0:3], s[4:5], 0x0
	s_load_dwordx2 s[12:13], s[4:5], 0x10
	s_mov_b32 s23, 0
	s_mov_b64 s[14:15], 0xc4
	s_waitcnt lgkmcnt(0)
	s_and_b32 s4, s7, 0xffff
	s_mul_i32 s6, s6, s4
	v_add_u32_e32 v0, s6, v0
	s_movk_i32 s4, 0x62
	s_add_u32 s21, s0, 16
	v_mul_lo_u32 v64, v0, s4
	s_addc_u32 s4, s1, 0
	v_mov_b32_e32 v65, s4
	v_mov_b32_e32 v88, s3
	;; [unrolled: 1-line block ×3, first 2 shown]
.LBB23_1:                               ; =>This Loop Header: Depth=1
                                        ;     Child Loop BB23_2 Depth 2
	v_mad_u64_u32 v[0:1], s[4:5], s23, 14, v[64:65]
	v_ashrrev_i32_e32 v1, 31, v0
	v_lshlrev_b64 v[2:3], 4, v[0:1]
	v_add_co_u32_e32 v68, vcc, s2, v2
	v_add_u32_e32 v2, 2, v0
	v_addc_co_u32_e32 v69, vcc, v88, v3, vcc
	v_ashrrev_i32_e32 v3, 31, v2
	v_lshlrev_b64 v[2:3], 4, v[2:3]
	v_add_co_u32_e32 v70, vcc, s2, v2
	v_add_u32_e32 v2, 4, v0
	v_addc_co_u32_e32 v71, vcc, v88, v3, vcc
	;; [unrolled: 5-line block ×5, first 2 shown]
	v_ashrrev_i32_e32 v3, 31, v2
	v_lshlrev_b64 v[2:3], 4, v[2:3]
	v_add_u32_e32 v0, 12, v0
	v_add_co_u32_e32 v78, vcc, s2, v2
	v_ashrrev_i32_e32 v1, 31, v0
	v_addc_co_u32_e32 v79, vcc, v88, v3, vcc
	v_lshlrev_b64 v[0:1], 4, v[0:1]
	v_add_co_u32_e32 v80, vcc, s2, v0
	v_addc_co_u32_e32 v81, vcc, v88, v1, vcc
	global_load_dwordx4 v[12:15], v[68:69], off offset:16
	global_load_dwordx4 v[0:3], v[68:69], off
	global_load_dwordx4 v[8:11], v[70:71], off offset:16
	global_load_dwordx4 v[4:7], v[70:71], off
	;; [unrolled: 2-line block ×7, first 2 shown]
	v_ashrrev_i32_e32 v67, 31, v66
	v_lshlrev_b64 v[56:57], 4, v[66:67]
	v_add_co_u32_e32 v82, vcc, s21, v56
	v_addc_co_u32_e32 v83, vcc, v65, v57, vcc
	s_mov_b64 s[16:17], 0
	v_mov_b32_e32 v84, v64
	s_mov_b64 s[18:19], s[14:15]
.LBB23_2:                               ;   Parent Loop BB23_1 Depth=1
                                        ; =>  This Inner Loop Header: Depth=2
	s_add_u32 s4, s12, s18
	v_ashrrev_i32_e32 v85, 31, v84
	s_addc_u32 s5, s13, s19
	v_lshlrev_b64 v[86:87], 4, v[84:85]
	s_add_u32 s6, s4, 0xffffff3c
	v_add_co_u32_e32 v86, vcc, s0, v86
	v_mov_b32_e32 v67, s1
	s_addc_u32 s7, s5, -1
	v_addc_co_u32_e32 v87, vcc, v67, v87, vcc
	s_load_dword s22, s[6:7], 0x0
	s_load_dword s20, s[4:5], 0x0
	global_load_dwordx4 v[56:59], v[82:83], off
	global_load_dwordx4 v[60:63], v[82:83], off offset:-16
	global_load_dwordx4 v[90:93], v[86:87], off offset:16
	global_load_dwordx4 v[94:97], v[86:87], off
	s_add_u32 s8, s12, s16
	s_addc_u32 s9, s13, s17
	s_load_dwordx4 s[4:7], s[8:9], 0x0
	s_load_dwordx2 s[28:29], s[8:9], 0x10
	s_load_dword s24, s[8:9], 0x18
	s_load_dword s26, s[8:9], 0xdc
	s_load_dwordx2 s[30:31], s[8:9], 0xd4
	s_nop 0
	s_load_dwordx4 s[8:11], s[8:9], 0xc4
	s_add_u32 s18, s18, 4
	s_addc_u32 s19, s19, 0
	s_add_u32 s16, s16, 28
	s_addc_u32 s17, s17, 0
	s_cmpk_eq_i32 s16, 0xc4
	s_waitcnt vmcnt(3)
	v_xor_b32_e32 v59, 0x80000000, v59
	s_waitcnt vmcnt(1) lgkmcnt(0)
	v_pk_fma_f32 v[0:1], s[22:23], v[90:91], v[0:1] op_sel_hi:[0,1,1]
	s_waitcnt vmcnt(0)
	v_pk_fma_f32 v[12:13], s[22:23], v[94:95], v[12:13] op_sel_hi:[0,1,1] neg_lo:[1,0,0] neg_hi:[1,0,0]
	v_pk_fma_f32 v[12:13], v[60:61], s[4:5], v[12:13] op_sel_hi:[1,0,1]
	v_pk_fma_f32 v[12:13], s[20:21], v[90:91], v[12:13] op_sel_hi:[0,1,1]
	v_add_u32_e32 v90, 2, v84
	v_ashrrev_i32_e32 v91, 31, v90
	v_pk_fma_f32 v[0:1], v[60:61], s[8:9], v[0:1] op_sel_hi:[1,0,1] neg_lo:[1,0,0] neg_hi:[1,0,0]
	v_lshlrev_b64 v[90:91], 4, v[90:91]
	v_pk_fma_f32 v[14:15], s[22:23], v[96:97], v[14:15] op_sel_hi:[0,1,1] neg_lo:[1,0,0] neg_hi:[1,0,0]
	v_pk_fma_f32 v[2:3], s[22:23], v[92:93], v[2:3] op_sel_hi:[0,1,1]
	v_xor_b32_e32 v87, 0x80000000, v63
	v_xor_b32_e32 v86, 0x80000000, v62
	v_pk_fma_f32 v[0:1], s[20:21], v[94:95], v[0:1] op_sel_hi:[0,1,1]
	v_add_co_u32_e32 v94, vcc, s0, v90
	v_pk_fma_f32 v[14:15], v[62:63], s[4:5], v[14:15] op_sel_hi:[1,0,1]
	v_pk_fma_f32 v[2:3], v[86:87], s[8:9], v[2:3] op_sel_hi:[1,0,1]
	v_addc_co_u32_e32 v95, vcc, v67, v91, vcc
	v_pk_fma_f32 v[14:15], s[20:21], v[92:93], v[14:15] op_sel_hi:[0,1,1]
	v_pk_fma_f32 v[2:3], s[20:21], v[96:97], v[2:3] op_sel_hi:[0,1,1]
	global_load_dwordx4 v[90:93], v[94:95], off offset:16
	s_nop 0
	global_load_dwordx4 v[94:97], v[94:95], off
	v_xor_b32_e32 v58, 0x80000000, v58
	v_pk_fma_f32 v[2:3], v[58:59], s[4:5], v[2:3] op_sel_hi:[1,0,1]
	v_pk_fma_f32 v[0:1], v[56:57], s[4:5], v[0:1] op_sel_hi:[1,0,1] neg_lo:[1,0,0] neg_hi:[1,0,0]
	v_pk_fma_f32 v[14:15], v[58:59], s[8:9], v[14:15] op_sel_hi:[1,0,1]
	v_pk_fma_f32 v[12:13], v[56:57], s[8:9], v[12:13] op_sel_hi:[1,0,1] neg_lo:[1,0,0] neg_hi:[1,0,0]
	s_waitcnt vmcnt(1)
	v_pk_fma_f32 v[4:5], s[22:23], v[90:91], v[4:5] op_sel_hi:[0,1,1]
	s_waitcnt vmcnt(0)
	v_pk_fma_f32 v[8:9], s[22:23], v[94:95], v[8:9] op_sel_hi:[0,1,1] neg_lo:[1,0,0] neg_hi:[1,0,0]
	v_pk_fma_f32 v[8:9], v[60:61], s[4:5], v[8:9] op_sel:[0,1,0]
	v_pk_fma_f32 v[8:9], s[20:21], v[90:91], v[8:9] op_sel_hi:[0,1,1]
	v_add_u32_e32 v90, 4, v84
	v_ashrrev_i32_e32 v91, 31, v90
	v_pk_fma_f32 v[4:5], v[60:61], s[8:9], v[4:5] op_sel:[0,1,0] neg_lo:[1,0,0] neg_hi:[1,0,0]
	v_lshlrev_b64 v[90:91], 4, v[90:91]
	v_pk_fma_f32 v[10:11], s[22:23], v[96:97], v[10:11] op_sel_hi:[0,1,1] neg_lo:[1,0,0] neg_hi:[1,0,0]
	v_pk_fma_f32 v[6:7], s[22:23], v[92:93], v[6:7] op_sel_hi:[0,1,1]
	v_pk_fma_f32 v[4:5], s[20:21], v[94:95], v[4:5] op_sel_hi:[0,1,1]
	v_add_co_u32_e32 v94, vcc, s0, v90
	v_pk_fma_f32 v[10:11], v[62:63], s[4:5], v[10:11] op_sel:[0,1,0]
	v_pk_fma_f32 v[6:7], v[86:87], s[8:9], v[6:7] op_sel:[0,1,0]
	v_addc_co_u32_e32 v95, vcc, v67, v91, vcc
	v_pk_fma_f32 v[10:11], s[20:21], v[92:93], v[10:11] op_sel_hi:[0,1,1]
	v_pk_fma_f32 v[6:7], s[20:21], v[96:97], v[6:7] op_sel_hi:[0,1,1]
	global_load_dwordx4 v[90:93], v[94:95], off offset:16
	s_nop 0
	global_load_dwordx4 v[94:97], v[94:95], off
	v_pk_fma_f32 v[6:7], v[58:59], s[4:5], v[6:7] op_sel:[0,1,0]
	v_pk_fma_f32 v[4:5], v[56:57], s[4:5], v[4:5] op_sel:[0,1,0] neg_lo:[1,0,0] neg_hi:[1,0,0]
	s_mov_b32 s4, s7
	v_pk_fma_f32 v[10:11], v[58:59], s[8:9], v[10:11] op_sel:[0,1,0]
	v_pk_fma_f32 v[8:9], v[56:57], s[8:9], v[8:9] op_sel:[0,1,0] neg_lo:[1,0,0] neg_hi:[1,0,0]
	s_waitcnt vmcnt(1)
	v_pk_fma_f32 v[16:17], s[22:23], v[90:91], v[16:17] op_sel_hi:[0,1,1]
	s_waitcnt vmcnt(0)
	v_pk_fma_f32 v[20:21], s[22:23], v[94:95], v[20:21] op_sel_hi:[0,1,1] neg_lo:[1,0,0] neg_hi:[1,0,0]
	v_pk_fma_f32 v[20:21], v[60:61], s[6:7], v[20:21] op_sel_hi:[1,0,1]
	v_pk_fma_f32 v[20:21], s[20:21], v[90:91], v[20:21] op_sel_hi:[0,1,1]
	v_add_u32_e32 v90, 6, v84
	v_ashrrev_i32_e32 v91, 31, v90
	v_pk_fma_f32 v[16:17], v[60:61], s[10:11], v[16:17] op_sel_hi:[1,0,1] neg_lo:[1,0,0] neg_hi:[1,0,0]
	v_lshlrev_b64 v[90:91], 4, v[90:91]
	v_pk_fma_f32 v[22:23], s[22:23], v[96:97], v[22:23] op_sel_hi:[0,1,1] neg_lo:[1,0,0] neg_hi:[1,0,0]
	v_pk_fma_f32 v[18:19], s[22:23], v[92:93], v[18:19] op_sel_hi:[0,1,1]
	v_pk_fma_f32 v[16:17], s[20:21], v[94:95], v[16:17] op_sel_hi:[0,1,1]
	v_add_co_u32_e32 v94, vcc, s0, v90
	v_pk_fma_f32 v[22:23], v[62:63], s[6:7], v[22:23] op_sel_hi:[1,0,1]
	v_pk_fma_f32 v[18:19], v[86:87], s[10:11], v[18:19] op_sel_hi:[1,0,1]
	v_addc_co_u32_e32 v95, vcc, v67, v91, vcc
	v_pk_fma_f32 v[22:23], s[20:21], v[92:93], v[22:23] op_sel_hi:[0,1,1]
	v_pk_fma_f32 v[18:19], s[20:21], v[96:97], v[18:19] op_sel_hi:[0,1,1]
	global_load_dwordx4 v[90:93], v[94:95], off offset:16
	s_nop 0
	global_load_dwordx4 v[94:97], v[94:95], off
	v_pk_fma_f32 v[18:19], v[58:59], s[6:7], v[18:19] op_sel_hi:[1,0,1]
	v_pk_fma_f32 v[16:17], v[56:57], s[6:7], v[16:17] op_sel_hi:[1,0,1] neg_lo:[1,0,0] neg_hi:[1,0,0]
	s_mov_b32 s6, s11
	v_pk_fma_f32 v[22:23], v[58:59], s[10:11], v[22:23] op_sel_hi:[1,0,1]
	v_pk_fma_f32 v[20:21], v[56:57], s[10:11], v[20:21] op_sel_hi:[1,0,1] neg_lo:[1,0,0] neg_hi:[1,0,0]
	s_waitcnt vmcnt(1)
	v_pk_fma_f32 v[24:25], s[22:23], v[90:91], v[24:25] op_sel_hi:[0,1,1]
	s_waitcnt vmcnt(0)
	v_pk_fma_f32 v[28:29], s[22:23], v[94:95], v[28:29] op_sel_hi:[0,1,1] neg_lo:[1,0,0] neg_hi:[1,0,0]
	v_pk_fma_f32 v[28:29], v[60:61], s[4:5], v[28:29] op_sel_hi:[1,0,1]
	v_pk_fma_f32 v[28:29], s[20:21], v[90:91], v[28:29] op_sel_hi:[0,1,1]
	v_add_u32_e32 v90, 8, v84
	v_ashrrev_i32_e32 v91, 31, v90
	v_pk_fma_f32 v[24:25], v[60:61], s[6:7], v[24:25] op_sel_hi:[1,0,1] neg_lo:[1,0,0] neg_hi:[1,0,0]
	v_lshlrev_b64 v[90:91], 4, v[90:91]
	v_pk_fma_f32 v[30:31], s[22:23], v[96:97], v[30:31] op_sel_hi:[0,1,1] neg_lo:[1,0,0] neg_hi:[1,0,0]
	v_pk_fma_f32 v[26:27], s[22:23], v[92:93], v[26:27] op_sel_hi:[0,1,1]
	v_pk_fma_f32 v[24:25], s[20:21], v[94:95], v[24:25] op_sel_hi:[0,1,1]
	v_add_co_u32_e32 v94, vcc, s0, v90
	v_pk_fma_f32 v[30:31], v[62:63], s[4:5], v[30:31] op_sel_hi:[1,0,1]
	v_pk_fma_f32 v[26:27], v[86:87], s[6:7], v[26:27] op_sel_hi:[1,0,1]
	v_addc_co_u32_e32 v95, vcc, v67, v91, vcc
	v_pk_fma_f32 v[30:31], s[20:21], v[92:93], v[30:31] op_sel_hi:[0,1,1]
	v_pk_fma_f32 v[26:27], s[20:21], v[96:97], v[26:27] op_sel_hi:[0,1,1]
	global_load_dwordx4 v[90:93], v[94:95], off offset:16
	s_nop 0
	global_load_dwordx4 v[94:97], v[94:95], off
	v_pk_fma_f32 v[30:31], v[58:59], s[6:7], v[30:31] op_sel_hi:[1,0,1]
	v_pk_fma_f32 v[28:29], v[56:57], s[6:7], v[28:29] op_sel_hi:[1,0,1] neg_lo:[1,0,0] neg_hi:[1,0,0]
	v_pk_fma_f32 v[26:27], v[58:59], s[4:5], v[26:27] op_sel_hi:[1,0,1]
	v_pk_fma_f32 v[24:25], v[56:57], s[4:5], v[24:25] op_sel_hi:[1,0,1] neg_lo:[1,0,0] neg_hi:[1,0,0]
	s_waitcnt vmcnt(1)
	v_pk_fma_f32 v[48:49], s[22:23], v[90:91], v[48:49] op_sel_hi:[0,1,1]
	s_waitcnt vmcnt(0)
	v_pk_fma_f32 v[52:53], s[22:23], v[94:95], v[52:53] op_sel_hi:[0,1,1] neg_lo:[1,0,0] neg_hi:[1,0,0]
	v_pk_fma_f32 v[52:53], v[60:61], s[28:29], v[52:53] op_sel_hi:[1,0,1]
	v_pk_fma_f32 v[52:53], s[20:21], v[90:91], v[52:53] op_sel_hi:[0,1,1]
	v_add_u32_e32 v90, 10, v84
	v_ashrrev_i32_e32 v91, 31, v90
	v_pk_fma_f32 v[48:49], v[60:61], s[30:31], v[48:49] op_sel_hi:[1,0,1] neg_lo:[1,0,0] neg_hi:[1,0,0]
	v_lshlrev_b64 v[90:91], 4, v[90:91]
	v_pk_fma_f32 v[54:55], s[22:23], v[96:97], v[54:55] op_sel_hi:[0,1,1] neg_lo:[1,0,0] neg_hi:[1,0,0]
	v_pk_fma_f32 v[50:51], s[22:23], v[92:93], v[50:51] op_sel_hi:[0,1,1]
	v_pk_fma_f32 v[48:49], s[20:21], v[94:95], v[48:49] op_sel_hi:[0,1,1]
	v_add_co_u32_e32 v94, vcc, s0, v90
	v_pk_fma_f32 v[54:55], v[62:63], s[28:29], v[54:55] op_sel_hi:[1,0,1]
	v_pk_fma_f32 v[50:51], v[86:87], s[30:31], v[50:51] op_sel_hi:[1,0,1]
	v_addc_co_u32_e32 v95, vcc, v67, v91, vcc
	v_pk_fma_f32 v[54:55], s[20:21], v[92:93], v[54:55] op_sel_hi:[0,1,1]
	v_pk_fma_f32 v[50:51], s[20:21], v[96:97], v[50:51] op_sel_hi:[0,1,1]
	global_load_dwordx4 v[90:93], v[94:95], off offset:16
	s_nop 0
	global_load_dwordx4 v[94:97], v[94:95], off
	v_pk_fma_f32 v[54:55], v[58:59], s[30:31], v[54:55] op_sel_hi:[1,0,1]
	v_pk_fma_f32 v[52:53], v[56:57], s[30:31], v[52:53] op_sel_hi:[1,0,1] neg_lo:[1,0,0] neg_hi:[1,0,0]
	v_pk_fma_f32 v[50:51], v[58:59], s[28:29], v[50:51] op_sel_hi:[1,0,1]
	v_pk_fma_f32 v[48:49], v[56:57], s[28:29], v[48:49] op_sel_hi:[1,0,1] neg_lo:[1,0,0] neg_hi:[1,0,0]
	s_waitcnt vmcnt(1)
	v_pk_fma_f32 v[40:41], s[22:23], v[90:91], v[40:41] op_sel_hi:[0,1,1]
	s_waitcnt vmcnt(0)
	v_pk_fma_f32 v[44:45], s[22:23], v[94:95], v[44:45] op_sel_hi:[0,1,1] neg_lo:[1,0,0] neg_hi:[1,0,0]
	v_pk_fma_f32 v[44:45], v[60:61], s[28:29], v[44:45] op_sel:[0,1,0]
	v_pk_fma_f32 v[44:45], s[20:21], v[90:91], v[44:45] op_sel_hi:[0,1,1]
	v_add_u32_e32 v90, 12, v84
	v_ashrrev_i32_e32 v91, 31, v90
	v_pk_fma_f32 v[40:41], v[60:61], s[30:31], v[40:41] op_sel:[0,1,0] neg_lo:[1,0,0] neg_hi:[1,0,0]
	v_lshlrev_b64 v[90:91], 4, v[90:91]
	v_pk_fma_f32 v[46:47], s[22:23], v[96:97], v[46:47] op_sel_hi:[0,1,1] neg_lo:[1,0,0] neg_hi:[1,0,0]
	v_pk_fma_f32 v[42:43], s[22:23], v[92:93], v[42:43] op_sel_hi:[0,1,1]
	v_pk_fma_f32 v[40:41], s[20:21], v[94:95], v[40:41] op_sel_hi:[0,1,1]
	v_add_co_u32_e32 v94, vcc, s0, v90
	v_pk_fma_f32 v[46:47], v[62:63], s[28:29], v[46:47] op_sel:[0,1,0]
	v_pk_fma_f32 v[42:43], v[86:87], s[30:31], v[42:43] op_sel:[0,1,0]
	v_addc_co_u32_e32 v95, vcc, v67, v91, vcc
	v_pk_fma_f32 v[46:47], s[20:21], v[92:93], v[46:47] op_sel_hi:[0,1,1]
	v_pk_fma_f32 v[42:43], s[20:21], v[96:97], v[42:43] op_sel_hi:[0,1,1]
	global_load_dwordx4 v[90:93], v[94:95], off offset:16
	s_nop 0
	global_load_dwordx4 v[94:97], v[94:95], off
	v_add_co_u32_e32 v82, vcc, 32, v82
	v_pk_fma_f32 v[46:47], v[58:59], s[30:31], v[46:47] op_sel:[0,1,0]
	v_pk_fma_f32 v[44:45], v[56:57], s[30:31], v[44:45] op_sel:[0,1,0] neg_lo:[1,0,0] neg_hi:[1,0,0]
	v_pk_fma_f32 v[42:43], v[58:59], s[28:29], v[42:43] op_sel:[0,1,0]
	v_pk_fma_f32 v[40:41], v[56:57], s[28:29], v[40:41] op_sel:[0,1,0] neg_lo:[1,0,0] neg_hi:[1,0,0]
	v_add_u32_e32 v84, 14, v84
	v_addc_co_u32_e32 v83, vcc, 0, v83, vcc
	s_waitcnt vmcnt(1)
	v_pk_fma_f32 v[34:35], s[22:23], v[92:93], v[34:35] op_sel_hi:[0,1,1]
	s_waitcnt vmcnt(0)
	v_pk_fma_f32 v[38:39], s[22:23], v[96:97], v[38:39] op_sel_hi:[0,1,1] neg_lo:[1,0,0] neg_hi:[1,0,0]
	v_pk_fma_f32 v[36:37], s[22:23], v[94:95], v[36:37] op_sel_hi:[0,1,1] neg_lo:[1,0,0] neg_hi:[1,0,0]
	v_pk_fma_f32 v[32:33], s[22:23], v[90:91], v[32:33] op_sel_hi:[0,1,1]
	v_pk_fma_f32 v[38:39], v[62:63], s[24:25], v[38:39] op_sel_hi:[1,0,1]
	;; [unrolled: 1-line block ×4, first 2 shown]
	v_pk_fma_f32 v[32:33], v[60:61], s[26:27], v[32:33] op_sel_hi:[1,0,1] neg_lo:[1,0,0] neg_hi:[1,0,0]
	v_pk_fma_f32 v[38:39], s[20:21], v[92:93], v[38:39] op_sel_hi:[0,1,1]
	v_pk_fma_f32 v[36:37], s[20:21], v[90:91], v[36:37] op_sel_hi:[0,1,1]
	;; [unrolled: 1-line block ×5, first 2 shown]
	v_pk_fma_f32 v[36:37], v[56:57], s[26:27], v[36:37] op_sel_hi:[1,0,1] neg_lo:[1,0,0] neg_hi:[1,0,0]
	v_pk_fma_f32 v[34:35], v[58:59], s[24:25], v[34:35] op_sel_hi:[1,0,1]
	v_pk_fma_f32 v[32:33], v[56:57], s[24:25], v[32:33] op_sel_hi:[1,0,1] neg_lo:[1,0,0] neg_hi:[1,0,0]
	s_cbranch_scc0 .LBB23_2
; %bb.3:                                ;   in Loop: Header=BB23_1 Depth=1
	s_add_i32 s23, s23, 1
	s_add_u32 s14, s14, 28
	s_addc_u32 s15, s15, 0
	s_cmp_eq_u32 s23, 7
	v_add_u32_e32 v66, 14, v66
	global_store_dwordx4 v[68:69], v[12:15], off offset:16
	global_store_dwordx4 v[68:69], v[0:3], off
	global_store_dwordx4 v[70:71], v[8:11], off offset:16
	global_store_dwordx4 v[70:71], v[4:7], off
	;; [unrolled: 2-line block ×7, first 2 shown]
	s_cbranch_scc0 .LBB23_1
; %bb.4:
	s_endpgm
	.section	.rodata,"a",@progbits
	.p2align	6, 0x0
	.amdhsa_kernel _Z39comm_manual_aosoa_constants_direct_permPK15HIP_vector_typeIfLj2EEPS0_S2_
		.amdhsa_group_segment_fixed_size 0
		.amdhsa_private_segment_fixed_size 0
		.amdhsa_kernarg_size 280
		.amdhsa_user_sgpr_count 6
		.amdhsa_user_sgpr_private_segment_buffer 1
		.amdhsa_user_sgpr_dispatch_ptr 0
		.amdhsa_user_sgpr_queue_ptr 0
		.amdhsa_user_sgpr_kernarg_segment_ptr 1
		.amdhsa_user_sgpr_dispatch_id 0
		.amdhsa_user_sgpr_flat_scratch_init 0
		.amdhsa_user_sgpr_kernarg_preload_length 0
		.amdhsa_user_sgpr_kernarg_preload_offset 0
		.amdhsa_user_sgpr_private_segment_size 0
		.amdhsa_uses_dynamic_stack 0
		.amdhsa_system_sgpr_private_segment_wavefront_offset 0
		.amdhsa_system_sgpr_workgroup_id_x 1
		.amdhsa_system_sgpr_workgroup_id_y 0
		.amdhsa_system_sgpr_workgroup_id_z 0
		.amdhsa_system_sgpr_workgroup_info 0
		.amdhsa_system_vgpr_workitem_id 0
		.amdhsa_next_free_vgpr 98
		.amdhsa_next_free_sgpr 32
		.amdhsa_accum_offset 100
		.amdhsa_reserve_vcc 1
		.amdhsa_reserve_flat_scratch 0
		.amdhsa_float_round_mode_32 0
		.amdhsa_float_round_mode_16_64 0
		.amdhsa_float_denorm_mode_32 3
		.amdhsa_float_denorm_mode_16_64 3
		.amdhsa_dx10_clamp 1
		.amdhsa_ieee_mode 1
		.amdhsa_fp16_overflow 0
		.amdhsa_tg_split 0
		.amdhsa_exception_fp_ieee_invalid_op 0
		.amdhsa_exception_fp_denorm_src 0
		.amdhsa_exception_fp_ieee_div_zero 0
		.amdhsa_exception_fp_ieee_overflow 0
		.amdhsa_exception_fp_ieee_underflow 0
		.amdhsa_exception_fp_ieee_inexact 0
		.amdhsa_exception_int_div_zero 0
	.end_amdhsa_kernel
	.text
.Lfunc_end23:
	.size	_Z39comm_manual_aosoa_constants_direct_permPK15HIP_vector_typeIfLj2EEPS0_S2_, .Lfunc_end23-_Z39comm_manual_aosoa_constants_direct_permPK15HIP_vector_typeIfLj2EEPS0_S2_
                                        ; -- End function
	.section	.AMDGPU.csdata,"",@progbits
; Kernel info:
; codeLenInByte = 1992
; NumSgprs: 36
; NumVgprs: 98
; NumAgprs: 0
; TotalNumVgprs: 98
; ScratchSize: 0
; MemoryBound: 1
; FloatMode: 240
; IeeeMode: 1
; LDSByteSize: 0 bytes/workgroup (compile time only)
; SGPRBlocks: 4
; VGPRBlocks: 12
; NumSGPRsForWavesPerEU: 36
; NumVGPRsForWavesPerEU: 98
; AccumOffset: 100
; Occupancy: 4
; WaveLimiterHint : 1
; COMPUTE_PGM_RSRC2:SCRATCH_EN: 0
; COMPUTE_PGM_RSRC2:USER_SGPR: 6
; COMPUTE_PGM_RSRC2:TRAP_HANDLER: 0
; COMPUTE_PGM_RSRC2:TGID_X_EN: 1
; COMPUTE_PGM_RSRC2:TGID_Y_EN: 0
; COMPUTE_PGM_RSRC2:TGID_Z_EN: 0
; COMPUTE_PGM_RSRC2:TIDIG_COMP_CNT: 0
; COMPUTE_PGM_RSRC3_GFX90A:ACCUM_OFFSET: 24
; COMPUTE_PGM_RSRC3_GFX90A:TG_SPLIT: 0
	.text
	.protected	_Z16final_gpu_kernelPK15HIP_vector_typeIfLj2EEPS0_S2_i ; -- Begin function _Z16final_gpu_kernelPK15HIP_vector_typeIfLj2EEPS0_S2_i
	.globl	_Z16final_gpu_kernelPK15HIP_vector_typeIfLj2EEPS0_S2_i
	.p2align	8
	.type	_Z16final_gpu_kernelPK15HIP_vector_typeIfLj2EEPS0_S2_i,@function
_Z16final_gpu_kernelPK15HIP_vector_typeIfLj2EEPS0_S2_i: ; @_Z16final_gpu_kernelPK15HIP_vector_typeIfLj2EEPS0_S2_i
; %bb.0:
	v_and_b32_e32 v1, 0x3ff, v0
	v_bfe_u32 v0, v0, 10, 10
	v_cmp_gt_u32_e32 vcc, 49, v1
	v_cmp_eq_u32_e64 s[0:1], 0, v0
	s_and_b64 s[2:3], vcc, s[0:1]
	v_lshlrev_b32_e32 v2, 2, v1
	s_and_saveexec_b64 s[0:1], s[2:3]
	s_cbranch_execz .LBB24_2
; %bb.1:
	s_load_dwordx2 s[2:3], s[4:5], 0x10
	v_lshlrev_b32_e32 v3, 3, v1
	s_waitcnt lgkmcnt(0)
	global_load_dwordx2 v[4:5], v3, s[2:3]
	v_add_u32_e32 v3, 0x400, v2
	s_waitcnt vmcnt(0)
	ds_write2_b32 v3, v5, v4 offset0:136 offset1:188
.LBB24_2:
	s_or_b64 exec, exec, s[0:1]
	s_load_dword s2, s[4:5], 0x18
	v_lshlrev_b32_e32 v3, 4, v0
	v_lshl_add_u32 v16, s6, 5, v3
	s_waitcnt lgkmcnt(0)
	v_cmp_gt_i32_e64 s[0:1], s2, v16
	s_and_saveexec_b64 s[8:9], s[0:1]
	s_cbranch_execz .LBB24_9
; %bb.3:
	v_mul_u32_u24_e32 v3, 0x2493, v1
	v_mov_b32_e32 v4, 7
	v_mul_lo_u16_sdwa v3, v3, v4 dst_sel:DWORD dst_unused:UNUSED_PAD src0_sel:WORD_1 src1_sel:DWORD
	v_add_u32_e32 v4, 16, v16
	v_min_i32_e32 v17, s2, v4
	s_movk_i32 s0, 0xc4
	v_mov_b32_e32 v4, 0x310
	v_sub_u16_e32 v3, v1, v3
	v_mad_u32_u24 v4, v0, s0, v4
	s_load_dwordx4 s[8:11], s[4:5], 0x0
	v_add_u32_e32 v18, v4, v2
	v_mad_u32_u24 v19, v0, s0, v2
	v_sub_u32_e32 v2, v1, v3
	v_lshlrev_b32_e32 v3, 2, v3
	v_lshlrev_b32_e32 v2, 2, v2
	v_add_u32_e32 v20, v4, v3
	v_add_u32_e32 v24, v4, v2
	v_mov_b32_e32 v4, 0x498
	v_mov_b32_e32 v5, 0x188
	v_mad_u32_u24 v21, v0, s0, v3
	v_mad_u32_u24 v25, v0, s0, v2
	;; [unrolled: 1-line block ×4, first 2 shown]
	s_mulk_i32 s6, 0x620
	v_mul_u32_u24_e32 v0, 0x310, v0
	v_add_u32_e32 v22, 0x6f0, v2
	v_add_u32_e32 v23, 0x620, v2
	;; [unrolled: 1-line block ×8, first 2 shown]
	v_add3_u32 v0, v1, s6, v0
	s_mov_b64 s[2:3], 0
                                        ; implicit-def: $vgpr8
                                        ; implicit-def: $vgpr10
	s_branch .LBB24_5
.LBB24_4:                               ;   in Loop: Header=BB24_5 Depth=1
	s_or_b64 exec, exec, s[4:5]
	v_add_u32_e32 v16, 2, v16
	v_cmp_ge_i32_e64 s[0:1], v16, v17
	v_add_u32_e32 v0, 0x62, v0
	s_or_b64 s[2:3], s[0:1], s[2:3]
	v_mov_b32_e32 v8, v6
	v_mov_b32_e32 v9, v4
	;; [unrolled: 1-line block ×4, first 2 shown]
	s_andn2_b64 exec, exec, s[2:3]
	s_cbranch_execz .LBB24_9
.LBB24_5:                               ; =>This Inner Loop Header: Depth=1
	v_add_u32_e32 v2, 49, v0
	v_ashrrev_i32_e32 v1, 31, v0
	v_ashrrev_i32_e32 v3, 31, v2
	v_mov_b32_e32 v7, v10
	v_mov_b32_e32 v5, v11
	;; [unrolled: 1-line block ×4, first 2 shown]
	s_waitcnt lgkmcnt(0)
	s_barrier
	s_and_saveexec_b64 s[4:5], vcc
	s_cbranch_execz .LBB24_7
; %bb.6:                                ;   in Loop: Header=BB24_5 Depth=1
	v_lshlrev_b64 v[4:5], 3, v[0:1]
	v_mov_b32_e32 v11, s9
	v_add_co_u32_e64 v6, s[0:1], s8, v4
	v_addc_co_u32_e64 v7, s[0:1], v11, v5, s[0:1]
	v_lshlrev_b64 v[8:9], 3, v[2:3]
	v_add_co_u32_e64 v10, s[0:1], s8, v8
	v_addc_co_u32_e64 v11, s[0:1], v11, v9, s[0:1]
	global_load_dwordx2 v[12:13], v[6:7], off
	global_load_dwordx2 v[14:15], v[10:11], off
	v_mov_b32_e32 v6, s11
	v_add_co_u32_e64 v10, s[0:1], s10, v4
	v_addc_co_u32_e64 v11, s[0:1], v6, v5, s[0:1]
	v_add_co_u32_e64 v8, s[0:1], s10, v8
	v_addc_co_u32_e64 v9, s[0:1], v6, v9, s[0:1]
	global_load_dwordx2 v[6:7], v[10:11], off
	global_load_dwordx2 v[4:5], v[8:9], off
	s_waitcnt vmcnt(2)
	ds_write2_b32 v18, v12, v14 offset1:98
	ds_write2_b32 v19, v13, v15 offset1:98
	s_waitcnt vmcnt(1)
	v_mov_b32_e32 v8, v6
	s_waitcnt vmcnt(0)
	v_mov_b32_e32 v9, v4
	v_mov_b32_e32 v10, v7
	;; [unrolled: 1-line block ×3, first 2 shown]
.LBB24_7:                               ;   in Loop: Header=BB24_5 Depth=1
	s_or_b64 exec, exec, s[4:5]
	s_waitcnt lgkmcnt(0)
	s_barrier
	s_and_saveexec_b64 s[4:5], vcc
	s_cbranch_execz .LBB24_4
; %bb.8:                                ;   in Loop: Header=BB24_5 Depth=1
	ds_read2_b32 v[4:5], v20 offset0:42 offset1:98
	ds_read2_b32 v[32:33], v20 offset1:7
	ds_read2_b32 v[12:13], v20 offset0:14 offset1:21
	ds_read2_b32 v[6:7], v21 offset0:42 offset1:98
	ds_read2_b32 v[36:37], v21 offset1:7
	ds_read2_b32 v[14:15], v21 offset0:14 offset1:21
	ds_read2_b32 v[40:41], v22 offset1:1
	ds_read2_b32 v[42:43], v23 offset1:1
	s_waitcnt lgkmcnt(6)
	v_mov_b32_e32 v34, v32
	v_mov_b32_e32 v35, v5
	s_waitcnt lgkmcnt(3)
	v_mov_b32_e32 v38, v36
	v_mov_b32_e32 v39, v7
	s_waitcnt lgkmcnt(1)
	v_pk_fma_f32 v[8:9], v[38:39], v[40:41], v[8:9] op_sel_hi:[1,0,1]
	v_pk_fma_f32 v[10:11], v[34:35], v[40:41], v[10:11] op_sel_hi:[1,0,1] neg_lo:[1,0,0] neg_hi:[1,0,0]
	s_waitcnt lgkmcnt(0)
	v_pk_fma_f32 v[8:9], v[34:35], v[42:43], v[8:9] op_sel_hi:[1,0,1]
	v_pk_fma_f32 v[10:11], v[38:39], v[42:43], v[10:11] op_sel_hi:[1,0,1]
	ds_read2_b32 v[34:35], v24 offset1:1
	ds_read2_b32 v[38:39], v24 offset0:98 offset1:99
	ds_read2_b32 v[46:47], v25 offset1:1
	ds_read2_b32 v[48:49], v25 offset0:98 offset1:99
	;; [unrolled: 2-line block ×4, first 2 shown]
	s_waitcnt lgkmcnt(7)
	v_mov_b32_e32 v44, v34
	s_waitcnt lgkmcnt(5)
	v_mov_b32_e32 v50, v46
	;; [unrolled: 2-line block ×3, first 2 shown]
	v_mov_b32_e32 v45, v38
	s_waitcnt lgkmcnt(3)
	v_pk_fma_f32 v[8:9], v[50:51], v[52:53], v[8:9] op_sel_hi:[1,0,1] neg_lo:[1,0,0] neg_hi:[1,0,0]
	s_waitcnt lgkmcnt(1)
	v_pk_fma_f32 v[60:61], v[44:45], v[56:57], v[8:9] op_sel_hi:[1,0,1]
	v_pk_fma_f32 v[8:9], v[44:45], v[52:53], v[10:11] op_sel_hi:[1,0,1]
	v_pk_fma_f32 v[44:45], v[50:51], v[56:57], v[8:9] op_sel_hi:[1,0,1] neg_lo:[1,0,0] neg_hi:[1,0,0]
	ds_read2_b32 v[50:51], v28 offset0:7 offset1:14
	ds_read2_b32 v[8:9], v28 offset0:21 offset1:28
	ds_read2_b32 v[62:63], v29 offset0:7 offset1:14
	ds_read2_b32 v[10:11], v29 offset0:21 offset1:28
	v_mov_b32_e32 v36, v37
	v_mov_b32_e32 v32, v33
	s_waitcnt lgkmcnt(3)
	v_mov_b32_e32 v33, v50
	s_waitcnt lgkmcnt(1)
	v_mov_b32_e32 v37, v62
	v_pk_fma_f32 v[60:61], v[36:37], v[40:41], v[60:61] op_sel:[0,1,0]
	v_pk_fma_f32 v[60:61], v[32:33], v[42:43], v[60:61] op_sel:[0,1,0]
	v_pk_fma_f32 v[32:33], v[32:33], v[40:41], v[44:45] op_sel:[0,1,0] neg_lo:[1,0,0] neg_hi:[1,0,0]
	v_pk_fma_f32 v[32:33], v[36:37], v[42:43], v[32:33] op_sel:[0,1,0]
	v_mov_b32_e32 v38, v35
	v_mov_b32_e32 v48, v47
	;; [unrolled: 1-line block ×3, first 2 shown]
	v_pk_fma_f32 v[36:37], v[48:49], v[34:35], v[60:61] op_sel_hi:[1,0,1] neg_lo:[1,0,0] neg_hi:[1,0,0]
	v_mov_b32_e32 v40, v57
	v_pk_fma_f32 v[32:33], v[38:39], v[34:35], v[32:33] op_sel_hi:[1,0,1]
	ds_read2_b32 v[34:35], v22 offset0:2 offset1:3
	v_pk_fma_f32 v[36:37], v[38:39], v[40:41], v[36:37] op_sel_hi:[1,0,1]
	ds_read2_b32 v[38:39], v23 offset0:2 offset1:3
	v_pk_fma_f32 v[32:33], v[48:49], v[40:41], v[32:33] op_sel_hi:[1,0,1] neg_lo:[1,0,0] neg_hi:[1,0,0]
	ds_read2_b32 v[40:41], v24 offset0:2 offset1:3
	ds_read2_b32 v[42:43], v30 offset0:2 offset1:3
	;; [unrolled: 1-line block ×4, first 2 shown]
	v_mov_b32_e32 v62, v14
	v_mov_b32_e32 v50, v12
	s_waitcnt lgkmcnt(5)
	v_pk_fma_f32 v[36:37], v[62:63], v[34:35], v[36:37] op_sel_hi:[1,0,1]
	s_waitcnt lgkmcnt(4)
	v_pk_fma_f32 v[36:37], v[50:51], v[38:39], v[36:37] op_sel_hi:[1,0,1]
	v_pk_fma_f32 v[32:33], v[50:51], v[34:35], v[32:33] op_sel_hi:[1,0,1] neg_lo:[1,0,0] neg_hi:[1,0,0]
	s_waitcnt lgkmcnt(1)
	v_mov_b32_e32 v50, v46
	s_waitcnt lgkmcnt(0)
	v_mov_b32_e32 v51, v48
	v_pk_fma_f32 v[32:33], v[62:63], v[38:39], v[32:33] op_sel_hi:[1,0,1]
	v_mov_b32_e32 v44, v40
	v_mov_b32_e32 v45, v42
	v_pk_fma_f32 v[36:37], v[50:51], v[54:55], v[36:37] op_sel_hi:[1,0,1] neg_lo:[1,0,0] neg_hi:[1,0,0]
	v_pk_fma_f32 v[36:37], v[44:45], v[58:59], v[36:37] op_sel_hi:[1,0,1]
	v_pk_fma_f32 v[32:33], v[44:45], v[54:55], v[32:33] op_sel_hi:[1,0,1]
	v_mov_b32_e32 v14, v15
	v_mov_b32_e32 v15, v10
	v_pk_fma_f32 v[32:33], v[50:51], v[58:59], v[32:33] op_sel_hi:[1,0,1] neg_lo:[1,0,0] neg_hi:[1,0,0]
	v_mov_b32_e32 v12, v13
	v_mov_b32_e32 v13, v8
	v_pk_fma_f32 v[36:37], v[14:15], v[34:35], v[36:37] op_sel:[0,1,0]
	v_pk_fma_f32 v[36:37], v[12:13], v[38:39], v[36:37] op_sel:[0,1,0]
	v_pk_fma_f32 v[12:13], v[12:13], v[34:35], v[32:33] op_sel:[0,1,0] neg_lo:[1,0,0] neg_hi:[1,0,0]
	v_mov_b32_e32 v48, v47
	v_mov_b32_e32 v8, v55
	ds_read2_b32 v[34:35], v21 offset0:28 offset1:35
	v_pk_fma_f32 v[12:13], v[14:15], v[38:39], v[12:13] op_sel:[0,1,0]
	v_pk_fma_f32 v[14:15], v[48:49], v[8:9], v[36:37] op_sel_hi:[1,0,1] neg_lo:[1,0,0] neg_hi:[1,0,0]
	ds_read2_b32 v[32:33], v20 offset0:28 offset1:35
	ds_read2_b32 v[36:37], v22 offset0:4 offset1:5
	;; [unrolled: 1-line block ×3, first 2 shown]
	v_mov_b32_e32 v42, v41
	v_mov_b32_e32 v10, v59
	v_pk_fma_f32 v[12:13], v[42:43], v[8:9], v[12:13] op_sel_hi:[1,0,1]
	v_pk_fma_f32 v[14:15], v[42:43], v[10:11], v[14:15] op_sel_hi:[1,0,1]
	v_pk_fma_f32 v[12:13], v[48:49], v[10:11], v[12:13] op_sel_hi:[1,0,1] neg_lo:[1,0,0] neg_hi:[1,0,0]
	s_waitcnt lgkmcnt(3)
	v_mov_b32_e32 v10, v34
	s_waitcnt lgkmcnt(2)
	v_mov_b32_e32 v8, v32
	s_waitcnt lgkmcnt(1)
	v_pk_fma_f32 v[14:15], v[10:11], v[36:37], v[14:15] op_sel_hi:[1,0,1]
	s_waitcnt lgkmcnt(0)
	v_pk_fma_f32 v[14:15], v[8:9], v[38:39], v[14:15] op_sel_hi:[1,0,1]
	v_pk_fma_f32 v[8:9], v[8:9], v[36:37], v[12:13] op_sel_hi:[1,0,1] neg_lo:[1,0,0] neg_hi:[1,0,0]
	v_pk_fma_f32 v[8:9], v[10:11], v[38:39], v[8:9] op_sel_hi:[1,0,1]
	ds_read2_b32 v[10:11], v24 offset0:4 offset1:5
	ds_read2_b32 v[12:13], v30 offset0:4 offset1:5
	;; [unrolled: 1-line block ×6, first 2 shown]
	s_waitcnt lgkmcnt(5)
	v_mov_b32_e32 v40, v10
	s_waitcnt lgkmcnt(4)
	v_mov_b32_e32 v41, v12
	;; [unrolled: 2-line block ×4, first 2 shown]
	s_waitcnt lgkmcnt(1)
	v_pk_fma_f32 v[14:15], v[46:47], v[48:49], v[14:15] op_sel_hi:[1,0,1] neg_lo:[1,0,0] neg_hi:[1,0,0]
	v_pk_fma_f32 v[8:9], v[40:41], v[48:49], v[8:9] op_sel_hi:[1,0,1]
	s_waitcnt lgkmcnt(0)
	v_pk_fma_f32 v[14:15], v[40:41], v[50:51], v[14:15] op_sel_hi:[1,0,1]
	v_pk_fma_f32 v[8:9], v[46:47], v[50:51], v[8:9] op_sel_hi:[1,0,1] neg_lo:[1,0,0] neg_hi:[1,0,0]
	ds_read2_b32 v[40:41], v28 offset0:35 offset1:42
	ds_read2_b32 v[46:47], v29 offset0:35 offset1:42
	v_mov_b32_e32 v32, v33
	v_mov_b32_e32 v34, v35
	;; [unrolled: 1-line block ×3, first 2 shown]
	s_waitcnt lgkmcnt(1)
	v_mov_b32_e32 v33, v40
	s_waitcnt lgkmcnt(0)
	v_mov_b32_e32 v35, v46
	v_pk_fma_f32 v[14:15], v[34:35], v[36:37], v[14:15] op_sel:[0,1,0]
	v_pk_fma_f32 v[8:9], v[32:33], v[36:37], v[8:9] op_sel:[0,1,0] neg_lo:[1,0,0] neg_hi:[1,0,0]
	v_pk_fma_f32 v[14:15], v[32:33], v[38:39], v[14:15] op_sel:[0,1,0]
	v_pk_fma_f32 v[8:9], v[34:35], v[38:39], v[8:9] op_sel:[0,1,0]
	v_mov_b32_e32 v44, v43
	v_mov_b32_e32 v10, v49
	v_pk_fma_f32 v[14:15], v[44:45], v[10:11], v[14:15] op_sel_hi:[1,0,1] neg_lo:[1,0,0] neg_hi:[1,0,0]
	v_pk_fma_f32 v[8:9], v[12:13], v[10:11], v[8:9] op_sel_hi:[1,0,1]
	ds_read_b32 v10, v22 offset:24
	v_mov_b32_e32 v32, v51
	v_pk_fma_f32 v[14:15], v[12:13], v[32:33], v[14:15] op_sel_hi:[1,0,1]
	v_mov_b32_e32 v7, v47
	v_pk_fma_f32 v[8:9], v[44:45], v[32:33], v[8:9] op_sel_hi:[1,0,1] neg_lo:[1,0,0] neg_hi:[1,0,0]
	s_waitcnt lgkmcnt(0)
	v_pk_fma_f32 v[12:13], v[6:7], v[10:11], v[14:15] op_sel_hi:[1,0,1]
	ds_read_b32 v14, v23 offset:24
	v_mov_b32_e32 v5, v41
	v_lshlrev_b64 v[2:3], 3, v[2:3]
	s_waitcnt lgkmcnt(0)
	v_pk_fma_f32 v[12:13], v[4:5], v[14:15], v[12:13] op_sel_hi:[1,0,1]
	v_pk_fma_f32 v[4:5], v[4:5], v[10:11], v[8:9] op_sel_hi:[1,0,1] neg_lo:[1,0,0] neg_hi:[1,0,0]
	v_pk_fma_f32 v[4:5], v[6:7], v[14:15], v[4:5] op_sel_hi:[1,0,1]
	ds_read_b32 v6, v24 offset:24
	ds_read_b32 v7, v30 offset:24
	;; [unrolled: 1-line block ×6, first 2 shown]
	s_waitcnt lgkmcnt(1)
	v_pk_fma_f32 v[12:13], v[8:9], v[10:11], v[12:13] op_sel_hi:[1,0,1] neg_lo:[1,0,0] neg_hi:[1,0,0]
	s_waitcnt lgkmcnt(0)
	v_pk_fma_f32 v[12:13], v[6:7], v[14:15], v[12:13] op_sel_hi:[1,0,1]
	v_pk_fma_f32 v[4:5], v[6:7], v[10:11], v[4:5] op_sel_hi:[1,0,1]
	v_lshlrev_b64 v[6:7], 3, v[0:1]
	v_add_co_u32_e64 v6, s[0:1], s10, v6
	v_mov_b32_e32 v1, s11
	v_pk_fma_f32 v[4:5], v[8:9], v[14:15], v[4:5] op_sel_hi:[1,0,1] neg_lo:[1,0,0] neg_hi:[1,0,0]
	v_addc_co_u32_e64 v7, s[0:1], v1, v7, s[0:1]
	v_mov_b32_e32 v8, v12
	v_mov_b32_e32 v9, v4
	v_add_co_u32_e64 v2, s[0:1], s10, v2
	global_store_dwordx2 v[6:7], v[8:9], off
	v_addc_co_u32_e64 v3, s[0:1], v1, v3, s[0:1]
	v_mov_b32_e32 v6, v13
	v_mov_b32_e32 v7, v5
	global_store_dwordx2 v[2:3], v[6:7], off
	v_mov_b32_e32 v7, v4
	v_mov_b32_e32 v6, v12
	;; [unrolled: 1-line block ×3, first 2 shown]
	s_branch .LBB24_4
.LBB24_9:
	s_endpgm
	.section	.rodata,"a",@progbits
	.p2align	6, 0x0
	.amdhsa_kernel _Z16final_gpu_kernelPK15HIP_vector_typeIfLj2EEPS0_S2_i
		.amdhsa_group_segment_fixed_size 1972
		.amdhsa_private_segment_fixed_size 0
		.amdhsa_kernarg_size 28
		.amdhsa_user_sgpr_count 6
		.amdhsa_user_sgpr_private_segment_buffer 1
		.amdhsa_user_sgpr_dispatch_ptr 0
		.amdhsa_user_sgpr_queue_ptr 0
		.amdhsa_user_sgpr_kernarg_segment_ptr 1
		.amdhsa_user_sgpr_dispatch_id 0
		.amdhsa_user_sgpr_flat_scratch_init 0
		.amdhsa_user_sgpr_kernarg_preload_length 0
		.amdhsa_user_sgpr_kernarg_preload_offset 0
		.amdhsa_user_sgpr_private_segment_size 0
		.amdhsa_uses_dynamic_stack 0
		.amdhsa_system_sgpr_private_segment_wavefront_offset 0
		.amdhsa_system_sgpr_workgroup_id_x 1
		.amdhsa_system_sgpr_workgroup_id_y 0
		.amdhsa_system_sgpr_workgroup_id_z 0
		.amdhsa_system_sgpr_workgroup_info 0
		.amdhsa_system_vgpr_workitem_id 1
		.amdhsa_next_free_vgpr 64
		.amdhsa_next_free_sgpr 12
		.amdhsa_accum_offset 64
		.amdhsa_reserve_vcc 1
		.amdhsa_reserve_flat_scratch 0
		.amdhsa_float_round_mode_32 0
		.amdhsa_float_round_mode_16_64 0
		.amdhsa_float_denorm_mode_32 3
		.amdhsa_float_denorm_mode_16_64 3
		.amdhsa_dx10_clamp 1
		.amdhsa_ieee_mode 1
		.amdhsa_fp16_overflow 0
		.amdhsa_tg_split 0
		.amdhsa_exception_fp_ieee_invalid_op 0
		.amdhsa_exception_fp_denorm_src 0
		.amdhsa_exception_fp_ieee_div_zero 0
		.amdhsa_exception_fp_ieee_overflow 0
		.amdhsa_exception_fp_ieee_underflow 0
		.amdhsa_exception_fp_ieee_inexact 0
		.amdhsa_exception_int_div_zero 0
	.end_amdhsa_kernel
	.text
.Lfunc_end24:
	.size	_Z16final_gpu_kernelPK15HIP_vector_typeIfLj2EEPS0_S2_i, .Lfunc_end24-_Z16final_gpu_kernelPK15HIP_vector_typeIfLj2EEPS0_S2_i
                                        ; -- End function
	.section	.AMDGPU.csdata,"",@progbits
; Kernel info:
; codeLenInByte = 1856
; NumSgprs: 16
; NumVgprs: 64
; NumAgprs: 0
; TotalNumVgprs: 64
; ScratchSize: 0
; MemoryBound: 0
; FloatMode: 240
; IeeeMode: 1
; LDSByteSize: 1972 bytes/workgroup (compile time only)
; SGPRBlocks: 1
; VGPRBlocks: 7
; NumSGPRsForWavesPerEU: 16
; NumVGPRsForWavesPerEU: 64
; AccumOffset: 64
; Occupancy: 8
; WaveLimiterHint : 0
; COMPUTE_PGM_RSRC2:SCRATCH_EN: 0
; COMPUTE_PGM_RSRC2:USER_SGPR: 6
; COMPUTE_PGM_RSRC2:TRAP_HANDLER: 0
; COMPUTE_PGM_RSRC2:TGID_X_EN: 1
; COMPUTE_PGM_RSRC2:TGID_Y_EN: 0
; COMPUTE_PGM_RSRC2:TGID_Z_EN: 0
; COMPUTE_PGM_RSRC2:TIDIG_COMP_CNT: 1
; COMPUTE_PGM_RSRC3_GFX90A:ACCUM_OFFSET: 15
; COMPUTE_PGM_RSRC3_GFX90A:TG_SPLIT: 0
	.text
	.p2alignl 6, 3212836864
	.fill 256, 4, 3212836864
	.type	__hip_cuid_e7283375496fca0a,@object ; @__hip_cuid_e7283375496fca0a
	.section	.bss,"aw",@nobits
	.globl	__hip_cuid_e7283375496fca0a
__hip_cuid_e7283375496fca0a:
	.byte	0                               ; 0x0
	.size	__hip_cuid_e7283375496fca0a, 1

	.ident	"AMD clang version 19.0.0git (https://github.com/RadeonOpenCompute/llvm-project roc-6.4.0 25133 c7fe45cf4b819c5991fe208aaa96edf142730f1d)"
	.section	".note.GNU-stack","",@progbits
	.addrsig
	.addrsig_sym __hip_cuid_e7283375496fca0a
	.amdgpu_metadata
---
amdhsa.kernels:
  - .agpr_count:     0
    .args:
      - .actual_access:  read_only
        .address_space:  global
        .offset:         0
        .size:           8
        .value_kind:     global_buffer
      - .actual_access:  read_only
        .address_space:  global
        .offset:         8
        .size:           8
        .value_kind:     global_buffer
      - .actual_access:  read_only
        .address_space:  global
        .offset:         16
        .size:           8
        .value_kind:     global_buffer
    .group_segment_fixed_size: 0
    .kernarg_segment_align: 8
    .kernarg_segment_size: 24
    .language:       OpenCL C
    .language_version:
      - 2
      - 0
    .max_flat_workgroup_size: 1024
    .name:           _Z10comm_emptyP15HIP_vector_typeIfLj2EES1_S1_
    .private_segment_fixed_size: 0
    .sgpr_count:     4
    .sgpr_spill_count: 0
    .symbol:         _Z10comm_emptyP15HIP_vector_typeIfLj2EES1_S1_.kd
    .uniform_work_group_size: 1
    .uses_dynamic_stack: false
    .vgpr_count:     0
    .vgpr_spill_count: 0
    .wavefront_size: 64
  - .agpr_count:     0
    .args:
      - .actual_access:  read_only
        .address_space:  global
        .offset:         0
        .size:           8
        .value_kind:     global_buffer
      - .address_space:  global
        .offset:         8
        .size:           8
        .value_kind:     global_buffer
      - .actual_access:  read_only
        .address_space:  global
        .offset:         16
        .size:           8
        .value_kind:     global_buffer
      - .offset:         24
        .size:           4
        .value_kind:     by_value
      - .offset:         32
        .size:           4
        .value_kind:     hidden_block_count_x
      - .offset:         36
        .size:           4
        .value_kind:     hidden_block_count_y
      - .offset:         40
        .size:           4
        .value_kind:     hidden_block_count_z
      - .offset:         44
        .size:           2
        .value_kind:     hidden_group_size_x
      - .offset:         46
        .size:           2
        .value_kind:     hidden_group_size_y
      - .offset:         48
        .size:           2
        .value_kind:     hidden_group_size_z
      - .offset:         50
        .size:           2
        .value_kind:     hidden_remainder_x
      - .offset:         52
        .size:           2
        .value_kind:     hidden_remainder_y
      - .offset:         54
        .size:           2
        .value_kind:     hidden_remainder_z
      - .offset:         72
        .size:           8
        .value_kind:     hidden_global_offset_x
      - .offset:         80
        .size:           8
        .value_kind:     hidden_global_offset_y
      - .offset:         88
        .size:           8
        .value_kind:     hidden_global_offset_z
      - .offset:         96
        .size:           2
        .value_kind:     hidden_grid_dims
    .group_segment_fixed_size: 0
    .kernarg_segment_align: 8
    .kernarg_segment_size: 288
    .language:       OpenCL C
    .language_version:
      - 2
      - 0
    .max_flat_workgroup_size: 1024
    .name:           _Z9comm_initPK15HIP_vector_typeIfLj2EEPS0_S2_i
    .private_segment_fixed_size: 0
    .sgpr_count:     26
    .sgpr_spill_count: 0
    .symbol:         _Z9comm_initPK15HIP_vector_typeIfLj2EEPS0_S2_i.kd
    .uniform_work_group_size: 1
    .uses_dynamic_stack: false
    .vgpr_count:     22
    .vgpr_spill_count: 0
    .wavefront_size: 64
  - .agpr_count:     0
    .args:
      - .actual_access:  read_only
        .address_space:  global
        .offset:         0
        .size:           8
        .value_kind:     global_buffer
      - .address_space:  global
        .offset:         8
        .size:           8
        .value_kind:     global_buffer
      - .actual_access:  read_only
        .address_space:  global
        .offset:         16
        .size:           8
        .value_kind:     global_buffer
      - .offset:         24
        .size:           4
        .value_kind:     by_value
      - .offset:         32
        .size:           4
        .value_kind:     hidden_block_count_x
      - .offset:         36
        .size:           4
        .value_kind:     hidden_block_count_y
      - .offset:         40
        .size:           4
        .value_kind:     hidden_block_count_z
      - .offset:         44
        .size:           2
        .value_kind:     hidden_group_size_x
      - .offset:         46
        .size:           2
        .value_kind:     hidden_group_size_y
      - .offset:         48
        .size:           2
        .value_kind:     hidden_group_size_z
      - .offset:         50
        .size:           2
        .value_kind:     hidden_remainder_x
      - .offset:         52
        .size:           2
        .value_kind:     hidden_remainder_y
      - .offset:         54
        .size:           2
        .value_kind:     hidden_remainder_z
      - .offset:         72
        .size:           8
        .value_kind:     hidden_global_offset_x
      - .offset:         80
        .size:           8
        .value_kind:     hidden_global_offset_y
      - .offset:         88
        .size:           8
        .value_kind:     hidden_global_offset_z
      - .offset:         96
        .size:           2
        .value_kind:     hidden_grid_dims
    .group_segment_fixed_size: 0
    .kernarg_segment_align: 8
    .kernarg_segment_size: 288
    .language:       OpenCL C
    .language_version:
      - 2
      - 0
    .max_flat_workgroup_size: 1024
    .name:           _Z13comm_refactorPK15HIP_vector_typeIfLj2EEPS0_S2_i
    .private_segment_fixed_size: 0
    .sgpr_count:     36
    .sgpr_spill_count: 0
    .symbol:         _Z13comm_refactorPK15HIP_vector_typeIfLj2EEPS0_S2_i.kd
    .uniform_work_group_size: 1
    .uses_dynamic_stack: false
    .vgpr_count:     22
    .vgpr_spill_count: 0
    .wavefront_size: 64
  - .agpr_count:     0
    .args:
      - .actual_access:  read_only
        .address_space:  global
        .offset:         0
        .size:           8
        .value_kind:     global_buffer
      - .address_space:  global
        .offset:         8
        .size:           8
        .value_kind:     global_buffer
      - .actual_access:  read_only
        .address_space:  global
        .offset:         16
        .size:           8
        .value_kind:     global_buffer
      - .offset:         24
        .size:           4
        .value_kind:     by_value
      - .offset:         32
        .size:           4
        .value_kind:     hidden_block_count_x
      - .offset:         36
        .size:           4
        .value_kind:     hidden_block_count_y
      - .offset:         40
        .size:           4
        .value_kind:     hidden_block_count_z
      - .offset:         44
        .size:           2
        .value_kind:     hidden_group_size_x
      - .offset:         46
        .size:           2
        .value_kind:     hidden_group_size_y
      - .offset:         48
        .size:           2
        .value_kind:     hidden_group_size_z
      - .offset:         50
        .size:           2
        .value_kind:     hidden_remainder_x
      - .offset:         52
        .size:           2
        .value_kind:     hidden_remainder_y
      - .offset:         54
        .size:           2
        .value_kind:     hidden_remainder_z
      - .offset:         72
        .size:           8
        .value_kind:     hidden_global_offset_x
      - .offset:         80
        .size:           8
        .value_kind:     hidden_global_offset_y
      - .offset:         88
        .size:           8
        .value_kind:     hidden_global_offset_z
      - .offset:         96
        .size:           2
        .value_kind:     hidden_grid_dims
    .group_segment_fixed_size: 0
    .kernarg_segment_align: 8
    .kernarg_segment_size: 288
    .language:       OpenCL C
    .language_version:
      - 2
      - 0
    .max_flat_workgroup_size: 1024
    .name:           _Z26comm_refactor_direct_storePK15HIP_vector_typeIfLj2EEPS0_S2_i
    .private_segment_fixed_size: 0
    .sgpr_count:     36
    .sgpr_spill_count: 0
    .symbol:         _Z26comm_refactor_direct_storePK15HIP_vector_typeIfLj2EEPS0_S2_i.kd
    .uniform_work_group_size: 1
    .uses_dynamic_stack: false
    .vgpr_count:     24
    .vgpr_spill_count: 0
    .wavefront_size: 64
  - .agpr_count:     0
    .args:
      - .actual_access:  read_only
        .address_space:  global
        .offset:         0
        .size:           8
        .value_kind:     global_buffer
      - .address_space:  global
        .offset:         8
        .size:           8
        .value_kind:     global_buffer
      - .actual_access:  read_only
        .address_space:  global
        .offset:         16
        .size:           8
        .value_kind:     global_buffer
      - .offset:         24
        .size:           4
        .value_kind:     by_value
      - .offset:         32
        .size:           4
        .value_kind:     hidden_block_count_x
      - .offset:         36
        .size:           4
        .value_kind:     hidden_block_count_y
      - .offset:         40
        .size:           4
        .value_kind:     hidden_block_count_z
      - .offset:         44
        .size:           2
        .value_kind:     hidden_group_size_x
      - .offset:         46
        .size:           2
        .value_kind:     hidden_group_size_y
      - .offset:         48
        .size:           2
        .value_kind:     hidden_group_size_z
      - .offset:         50
        .size:           2
        .value_kind:     hidden_remainder_x
      - .offset:         52
        .size:           2
        .value_kind:     hidden_remainder_y
      - .offset:         54
        .size:           2
        .value_kind:     hidden_remainder_z
      - .offset:         72
        .size:           8
        .value_kind:     hidden_global_offset_x
      - .offset:         80
        .size:           8
        .value_kind:     hidden_global_offset_y
      - .offset:         88
        .size:           8
        .value_kind:     hidden_global_offset_z
      - .offset:         96
        .size:           2
        .value_kind:     hidden_grid_dims
    .group_segment_fixed_size: 0
    .kernarg_segment_align: 8
    .kernarg_segment_size: 288
    .language:       OpenCL C
    .language_version:
      - 2
      - 0
    .max_flat_workgroup_size: 1024
    .name:           _Z16comm_aosoa_naivePK15HIP_vector_typeIfLj2EEPS0_S2_i
    .private_segment_fixed_size: 0
    .sgpr_count:     35
    .sgpr_spill_count: 0
    .symbol:         _Z16comm_aosoa_naivePK15HIP_vector_typeIfLj2EEPS0_S2_i.kd
    .uniform_work_group_size: 1
    .uses_dynamic_stack: false
    .vgpr_count:     23
    .vgpr_spill_count: 0
    .wavefront_size: 64
  - .agpr_count:     0
    .args:
      - .actual_access:  read_only
        .address_space:  global
        .offset:         0
        .size:           8
        .value_kind:     global_buffer
      - .address_space:  global
        .offset:         8
        .size:           8
        .value_kind:     global_buffer
      - .actual_access:  read_only
        .address_space:  global
        .offset:         16
        .size:           8
        .value_kind:     global_buffer
      - .offset:         24
        .size:           4
        .value_kind:     by_value
      - .offset:         32
        .size:           4
        .value_kind:     hidden_block_count_x
      - .offset:         36
        .size:           4
        .value_kind:     hidden_block_count_y
      - .offset:         40
        .size:           4
        .value_kind:     hidden_block_count_z
      - .offset:         44
        .size:           2
        .value_kind:     hidden_group_size_x
      - .offset:         46
        .size:           2
        .value_kind:     hidden_group_size_y
      - .offset:         48
        .size:           2
        .value_kind:     hidden_group_size_z
      - .offset:         50
        .size:           2
        .value_kind:     hidden_remainder_x
      - .offset:         52
        .size:           2
        .value_kind:     hidden_remainder_y
      - .offset:         54
        .size:           2
        .value_kind:     hidden_remainder_z
      - .offset:         72
        .size:           8
        .value_kind:     hidden_global_offset_x
      - .offset:         80
        .size:           8
        .value_kind:     hidden_global_offset_y
      - .offset:         88
        .size:           8
        .value_kind:     hidden_global_offset_z
      - .offset:         96
        .size:           2
        .value_kind:     hidden_grid_dims
    .group_segment_fixed_size: 0
    .kernarg_segment_align: 8
    .kernarg_segment_size: 288
    .language:       OpenCL C
    .language_version:
      - 2
      - 0
    .max_flat_workgroup_size: 1024
    .name:           _Z26comm_aosoa_naive_constantsPK15HIP_vector_typeIfLj2EEPS0_S2_i
    .private_segment_fixed_size: 0
    .sgpr_count:     47
    .sgpr_spill_count: 0
    .symbol:         _Z26comm_aosoa_naive_constantsPK15HIP_vector_typeIfLj2EEPS0_S2_i.kd
    .uniform_work_group_size: 1
    .uses_dynamic_stack: false
    .vgpr_count:     61
    .vgpr_spill_count: 0
    .wavefront_size: 64
  - .agpr_count:     0
    .args:
      - .actual_access:  read_only
        .address_space:  global
        .offset:         0
        .size:           8
        .value_kind:     global_buffer
      - .address_space:  global
        .offset:         8
        .size:           8
        .value_kind:     global_buffer
      - .actual_access:  read_only
        .address_space:  global
        .offset:         16
        .size:           8
        .value_kind:     global_buffer
      - .offset:         24
        .size:           4
        .value_kind:     hidden_block_count_x
      - .offset:         28
        .size:           4
        .value_kind:     hidden_block_count_y
      - .offset:         32
        .size:           4
        .value_kind:     hidden_block_count_z
      - .offset:         36
        .size:           2
        .value_kind:     hidden_group_size_x
      - .offset:         38
        .size:           2
        .value_kind:     hidden_group_size_y
      - .offset:         40
        .size:           2
        .value_kind:     hidden_group_size_z
      - .offset:         42
        .size:           2
        .value_kind:     hidden_remainder_x
      - .offset:         44
        .size:           2
        .value_kind:     hidden_remainder_y
      - .offset:         46
        .size:           2
        .value_kind:     hidden_remainder_z
      - .offset:         64
        .size:           8
        .value_kind:     hidden_global_offset_x
      - .offset:         72
        .size:           8
        .value_kind:     hidden_global_offset_y
      - .offset:         80
        .size:           8
        .value_kind:     hidden_global_offset_z
      - .offset:         88
        .size:           2
        .value_kind:     hidden_grid_dims
    .group_segment_fixed_size: 0
    .kernarg_segment_align: 8
    .kernarg_segment_size: 280
    .language:       OpenCL C
    .language_version:
      - 2
      - 0
    .max_flat_workgroup_size: 1024
    .name:           _Z31comm_aosoa_naive_constants_permPK15HIP_vector_typeIfLj2EEPS0_S2_
    .private_segment_fixed_size: 0
    .sgpr_count:     30
    .sgpr_spill_count: 0
    .symbol:         _Z31comm_aosoa_naive_constants_permPK15HIP_vector_typeIfLj2EEPS0_S2_.kd
    .uniform_work_group_size: 1
    .uses_dynamic_stack: false
    .vgpr_count:     51
    .vgpr_spill_count: 0
    .wavefront_size: 64
  - .agpr_count:     0
    .args:
      - .actual_access:  read_only
        .address_space:  global
        .offset:         0
        .size:           8
        .value_kind:     global_buffer
      - .address_space:  global
        .offset:         8
        .size:           8
        .value_kind:     global_buffer
      - .actual_access:  read_only
        .address_space:  global
        .offset:         16
        .size:           8
        .value_kind:     global_buffer
      - .offset:         24
        .size:           4
        .value_kind:     by_value
      - .offset:         32
        .size:           4
        .value_kind:     hidden_block_count_x
      - .offset:         36
        .size:           4
        .value_kind:     hidden_block_count_y
      - .offset:         40
        .size:           4
        .value_kind:     hidden_block_count_z
      - .offset:         44
        .size:           2
        .value_kind:     hidden_group_size_x
      - .offset:         46
        .size:           2
        .value_kind:     hidden_group_size_y
      - .offset:         48
        .size:           2
        .value_kind:     hidden_group_size_z
      - .offset:         50
        .size:           2
        .value_kind:     hidden_remainder_x
      - .offset:         52
        .size:           2
        .value_kind:     hidden_remainder_y
      - .offset:         54
        .size:           2
        .value_kind:     hidden_remainder_z
      - .offset:         72
        .size:           8
        .value_kind:     hidden_global_offset_x
      - .offset:         80
        .size:           8
        .value_kind:     hidden_global_offset_y
      - .offset:         88
        .size:           8
        .value_kind:     hidden_global_offset_z
      - .offset:         96
        .size:           2
        .value_kind:     hidden_grid_dims
    .group_segment_fixed_size: 0
    .kernarg_segment_align: 8
    .kernarg_segment_size: 288
    .language:       OpenCL C
    .language_version:
      - 2
      - 0
    .max_flat_workgroup_size: 1024
    .name:           _Z23comm_aosoa_naive_directPK15HIP_vector_typeIfLj2EEPS0_S2_i
    .private_segment_fixed_size: 0
    .sgpr_count:     35
    .sgpr_spill_count: 0
    .symbol:         _Z23comm_aosoa_naive_directPK15HIP_vector_typeIfLj2EEPS0_S2_i.kd
    .uniform_work_group_size: 1
    .uses_dynamic_stack: false
    .vgpr_count:     27
    .vgpr_spill_count: 0
    .wavefront_size: 64
  - .agpr_count:     0
    .args:
      - .actual_access:  read_only
        .address_space:  global
        .offset:         0
        .size:           8
        .value_kind:     global_buffer
      - .address_space:  global
        .offset:         8
        .size:           8
        .value_kind:     global_buffer
      - .actual_access:  read_only
        .address_space:  global
        .offset:         16
        .size:           8
        .value_kind:     global_buffer
      - .offset:         24
        .size:           4
        .value_kind:     hidden_block_count_x
      - .offset:         28
        .size:           4
        .value_kind:     hidden_block_count_y
      - .offset:         32
        .size:           4
        .value_kind:     hidden_block_count_z
      - .offset:         36
        .size:           2
        .value_kind:     hidden_group_size_x
      - .offset:         38
        .size:           2
        .value_kind:     hidden_group_size_y
      - .offset:         40
        .size:           2
        .value_kind:     hidden_group_size_z
      - .offset:         42
        .size:           2
        .value_kind:     hidden_remainder_x
      - .offset:         44
        .size:           2
        .value_kind:     hidden_remainder_y
      - .offset:         46
        .size:           2
        .value_kind:     hidden_remainder_z
      - .offset:         64
        .size:           8
        .value_kind:     hidden_global_offset_x
      - .offset:         72
        .size:           8
        .value_kind:     hidden_global_offset_y
      - .offset:         80
        .size:           8
        .value_kind:     hidden_global_offset_z
      - .offset:         88
        .size:           2
        .value_kind:     hidden_grid_dims
    .group_segment_fixed_size: 0
    .kernarg_segment_align: 8
    .kernarg_segment_size: 280
    .language:       OpenCL C
    .language_version:
      - 2
      - 0
    .max_flat_workgroup_size: 1024
    .name:           _Z33comm_aosoa_naive_constants_directPK15HIP_vector_typeIfLj2EEPS0_S2_
    .private_segment_fixed_size: 0
    .sgpr_count:     47
    .sgpr_spill_count: 0
    .symbol:         _Z33comm_aosoa_naive_constants_directPK15HIP_vector_typeIfLj2EEPS0_S2_.kd
    .uniform_work_group_size: 1
    .uses_dynamic_stack: false
    .vgpr_count:     64
    .vgpr_spill_count: 0
    .wavefront_size: 64
  - .agpr_count:     0
    .args:
      - .actual_access:  read_only
        .address_space:  global
        .offset:         0
        .size:           8
        .value_kind:     global_buffer
      - .address_space:  global
        .offset:         8
        .size:           8
        .value_kind:     global_buffer
      - .actual_access:  read_only
        .address_space:  global
        .offset:         16
        .size:           8
        .value_kind:     global_buffer
      - .offset:         24
        .size:           4
        .value_kind:     hidden_block_count_x
      - .offset:         28
        .size:           4
        .value_kind:     hidden_block_count_y
      - .offset:         32
        .size:           4
        .value_kind:     hidden_block_count_z
      - .offset:         36
        .size:           2
        .value_kind:     hidden_group_size_x
      - .offset:         38
        .size:           2
        .value_kind:     hidden_group_size_y
      - .offset:         40
        .size:           2
        .value_kind:     hidden_group_size_z
      - .offset:         42
        .size:           2
        .value_kind:     hidden_remainder_x
      - .offset:         44
        .size:           2
        .value_kind:     hidden_remainder_y
      - .offset:         46
        .size:           2
        .value_kind:     hidden_remainder_z
      - .offset:         64
        .size:           8
        .value_kind:     hidden_global_offset_x
      - .offset:         72
        .size:           8
        .value_kind:     hidden_global_offset_y
      - .offset:         80
        .size:           8
        .value_kind:     hidden_global_offset_z
      - .offset:         88
        .size:           2
        .value_kind:     hidden_grid_dims
    .group_segment_fixed_size: 0
    .kernarg_segment_align: 8
    .kernarg_segment_size: 280
    .language:       OpenCL C
    .language_version:
      - 2
      - 0
    .max_flat_workgroup_size: 1024
    .name:           _Z38comm_aosoa_naive_constants_direct_permPK15HIP_vector_typeIfLj2EEPS0_S2_
    .private_segment_fixed_size: 0
    .sgpr_count:     30
    .sgpr_spill_count: 0
    .symbol:         _Z38comm_aosoa_naive_constants_direct_permPK15HIP_vector_typeIfLj2EEPS0_S2_.kd
    .uniform_work_group_size: 1
    .uses_dynamic_stack: false
    .vgpr_count:     51
    .vgpr_spill_count: 0
    .wavefront_size: 64
  - .agpr_count:     0
    .args:
      - .actual_access:  read_only
        .address_space:  global
        .offset:         0
        .size:           8
        .value_kind:     global_buffer
      - .address_space:  global
        .offset:         8
        .size:           8
        .value_kind:     global_buffer
      - .actual_access:  read_only
        .address_space:  global
        .offset:         16
        .size:           8
        .value_kind:     global_buffer
      - .offset:         24
        .size:           4
        .value_kind:     by_value
    .group_segment_fixed_size: 0
    .kernarg_segment_align: 8
    .kernarg_segment_size: 28
    .language:       OpenCL C
    .language_version:
      - 2
      - 0
    .max_flat_workgroup_size: 1024
    .name:           _Z10comm_aosoaPK15HIP_vector_typeIfLj2EEPS0_S2_i
    .private_segment_fixed_size: 0
    .sgpr_count:     35
    .sgpr_spill_count: 0
    .symbol:         _Z10comm_aosoaPK15HIP_vector_typeIfLj2EEPS0_S2_i.kd
    .uniform_work_group_size: 1
    .uses_dynamic_stack: false
    .vgpr_count:     23
    .vgpr_spill_count: 0
    .wavefront_size: 64
  - .agpr_count:     0
    .args:
      - .actual_access:  read_only
        .address_space:  global
        .offset:         0
        .size:           8
        .value_kind:     global_buffer
      - .address_space:  global
        .offset:         8
        .size:           8
        .value_kind:     global_buffer
      - .actual_access:  read_only
        .address_space:  global
        .offset:         16
        .size:           8
        .value_kind:     global_buffer
    .group_segment_fixed_size: 0
    .kernarg_segment_align: 8
    .kernarg_segment_size: 24
    .language:       OpenCL C
    .language_version:
      - 2
      - 0
    .max_flat_workgroup_size: 1024
    .name:           _Z20comm_aosoa_constantsPK15HIP_vector_typeIfLj2EEPS0_S2_
    .private_segment_fixed_size: 0
    .sgpr_count:     47
    .sgpr_spill_count: 0
    .symbol:         _Z20comm_aosoa_constantsPK15HIP_vector_typeIfLj2EEPS0_S2_.kd
    .uniform_work_group_size: 1
    .uses_dynamic_stack: false
    .vgpr_count:     57
    .vgpr_spill_count: 0
    .wavefront_size: 64
  - .agpr_count:     0
    .args:
      - .actual_access:  read_only
        .address_space:  global
        .offset:         0
        .size:           8
        .value_kind:     global_buffer
      - .address_space:  global
        .offset:         8
        .size:           8
        .value_kind:     global_buffer
      - .actual_access:  read_only
        .address_space:  global
        .offset:         16
        .size:           8
        .value_kind:     global_buffer
    .group_segment_fixed_size: 0
    .kernarg_segment_align: 8
    .kernarg_segment_size: 24
    .language:       OpenCL C
    .language_version:
      - 2
      - 0
    .max_flat_workgroup_size: 1024
    .name:           _Z25comm_aosoa_constants_permPK15HIP_vector_typeIfLj2EEPS0_S2_
    .private_segment_fixed_size: 0
    .sgpr_count:     30
    .sgpr_spill_count: 0
    .symbol:         _Z25comm_aosoa_constants_permPK15HIP_vector_typeIfLj2EEPS0_S2_.kd
    .uniform_work_group_size: 1
    .uses_dynamic_stack: false
    .vgpr_count:     52
    .vgpr_spill_count: 0
    .wavefront_size: 64
  - .agpr_count:     0
    .args:
      - .actual_access:  read_only
        .address_space:  global
        .offset:         0
        .size:           8
        .value_kind:     global_buffer
      - .address_space:  global
        .offset:         8
        .size:           8
        .value_kind:     global_buffer
      - .actual_access:  read_only
        .address_space:  global
        .offset:         16
        .size:           8
        .value_kind:     global_buffer
      - .offset:         24
        .size:           4
        .value_kind:     by_value
    .group_segment_fixed_size: 0
    .kernarg_segment_align: 8
    .kernarg_segment_size: 28
    .language:       OpenCL C
    .language_version:
      - 2
      - 0
    .max_flat_workgroup_size: 1024
    .name:           _Z17comm_aosoa_directPK15HIP_vector_typeIfLj2EEPS0_S2_i
    .private_segment_fixed_size: 0
    .sgpr_count:     35
    .sgpr_spill_count: 0
    .symbol:         _Z17comm_aosoa_directPK15HIP_vector_typeIfLj2EEPS0_S2_i.kd
    .uniform_work_group_size: 1
    .uses_dynamic_stack: false
    .vgpr_count:     27
    .vgpr_spill_count: 0
    .wavefront_size: 64
  - .agpr_count:     0
    .args:
      - .actual_access:  read_only
        .address_space:  global
        .offset:         0
        .size:           8
        .value_kind:     global_buffer
      - .address_space:  global
        .offset:         8
        .size:           8
        .value_kind:     global_buffer
      - .actual_access:  read_only
        .address_space:  global
        .offset:         16
        .size:           8
        .value_kind:     global_buffer
    .group_segment_fixed_size: 0
    .kernarg_segment_align: 8
    .kernarg_segment_size: 24
    .language:       OpenCL C
    .language_version:
      - 2
      - 0
    .max_flat_workgroup_size: 1024
    .name:           _Z27comm_aosoa_constants_directPK15HIP_vector_typeIfLj2EEPS0_S2_
    .private_segment_fixed_size: 0
    .sgpr_count:     47
    .sgpr_spill_count: 0
    .symbol:         _Z27comm_aosoa_constants_directPK15HIP_vector_typeIfLj2EEPS0_S2_.kd
    .uniform_work_group_size: 1
    .uses_dynamic_stack: false
    .vgpr_count:     64
    .vgpr_spill_count: 0
    .wavefront_size: 64
  - .agpr_count:     0
    .args:
      - .actual_access:  read_only
        .address_space:  global
        .offset:         0
        .size:           8
        .value_kind:     global_buffer
      - .address_space:  global
        .offset:         8
        .size:           8
        .value_kind:     global_buffer
      - .actual_access:  read_only
        .address_space:  global
        .offset:         16
        .size:           8
        .value_kind:     global_buffer
    .group_segment_fixed_size: 0
    .kernarg_segment_align: 8
    .kernarg_segment_size: 24
    .language:       OpenCL C
    .language_version:
      - 2
      - 0
    .max_flat_workgroup_size: 1024
    .name:           _Z32comm_aosoa_constants_direct_permPK15HIP_vector_typeIfLj2EEPS0_S2_
    .private_segment_fixed_size: 0
    .sgpr_count:     30
    .sgpr_spill_count: 0
    .symbol:         _Z32comm_aosoa_constants_direct_permPK15HIP_vector_typeIfLj2EEPS0_S2_.kd
    .uniform_work_group_size: 1
    .uses_dynamic_stack: false
    .vgpr_count:     52
    .vgpr_spill_count: 0
    .wavefront_size: 64
  - .agpr_count:     0
    .args:
      - .actual_access:  read_only
        .address_space:  global
        .offset:         0
        .size:           8
        .value_kind:     global_buffer
      - .address_space:  global
        .offset:         8
        .size:           8
        .value_kind:     global_buffer
      - .actual_access:  read_only
        .address_space:  global
        .offset:         16
        .size:           8
        .value_kind:     global_buffer
      - .offset:         24
        .size:           4
        .value_kind:     by_value
      - .offset:         32
        .size:           4
        .value_kind:     hidden_block_count_x
      - .offset:         36
        .size:           4
        .value_kind:     hidden_block_count_y
      - .offset:         40
        .size:           4
        .value_kind:     hidden_block_count_z
      - .offset:         44
        .size:           2
        .value_kind:     hidden_group_size_x
      - .offset:         46
        .size:           2
        .value_kind:     hidden_group_size_y
      - .offset:         48
        .size:           2
        .value_kind:     hidden_group_size_z
      - .offset:         50
        .size:           2
        .value_kind:     hidden_remainder_x
      - .offset:         52
        .size:           2
        .value_kind:     hidden_remainder_y
      - .offset:         54
        .size:           2
        .value_kind:     hidden_remainder_z
      - .offset:         72
        .size:           8
        .value_kind:     hidden_global_offset_x
      - .offset:         80
        .size:           8
        .value_kind:     hidden_global_offset_y
      - .offset:         88
        .size:           8
        .value_kind:     hidden_global_offset_z
      - .offset:         96
        .size:           2
        .value_kind:     hidden_grid_dims
    .group_segment_fixed_size: 0
    .kernarg_segment_align: 8
    .kernarg_segment_size: 288
    .language:       OpenCL C
    .language_version:
      - 2
      - 0
    .max_flat_workgroup_size: 1024
    .name:           _Z17comm_manual_aosoaPK15HIP_vector_typeIfLj2EEPS0_S2_i
    .private_segment_fixed_size: 0
    .sgpr_count:     40
    .sgpr_spill_count: 0
    .symbol:         _Z17comm_manual_aosoaPK15HIP_vector_typeIfLj2EEPS0_S2_i.kd
    .uniform_work_group_size: 1
    .uses_dynamic_stack: false
    .vgpr_count:     40
    .vgpr_spill_count: 0
    .wavefront_size: 64
  - .agpr_count:     0
    .args:
      - .actual_access:  read_only
        .address_space:  global
        .offset:         0
        .size:           8
        .value_kind:     global_buffer
      - .address_space:  global
        .offset:         8
        .size:           8
        .value_kind:     global_buffer
      - .actual_access:  read_only
        .address_space:  global
        .offset:         16
        .size:           8
        .value_kind:     global_buffer
      - .offset:         24
        .size:           4
        .value_kind:     hidden_block_count_x
      - .offset:         28
        .size:           4
        .value_kind:     hidden_block_count_y
      - .offset:         32
        .size:           4
        .value_kind:     hidden_block_count_z
      - .offset:         36
        .size:           2
        .value_kind:     hidden_group_size_x
      - .offset:         38
        .size:           2
        .value_kind:     hidden_group_size_y
      - .offset:         40
        .size:           2
        .value_kind:     hidden_group_size_z
      - .offset:         42
        .size:           2
        .value_kind:     hidden_remainder_x
      - .offset:         44
        .size:           2
        .value_kind:     hidden_remainder_y
      - .offset:         46
        .size:           2
        .value_kind:     hidden_remainder_z
      - .offset:         64
        .size:           8
        .value_kind:     hidden_global_offset_x
      - .offset:         72
        .size:           8
        .value_kind:     hidden_global_offset_y
      - .offset:         80
        .size:           8
        .value_kind:     hidden_global_offset_z
      - .offset:         88
        .size:           2
        .value_kind:     hidden_grid_dims
    .group_segment_fixed_size: 0
    .kernarg_segment_align: 8
    .kernarg_segment_size: 280
    .language:       OpenCL C
    .language_version:
      - 2
      - 0
    .max_flat_workgroup_size: 1024
    .name:           _Z27comm_manual_aosoa_constantsPK15HIP_vector_typeIfLj2EEPS0_S2_
    .private_segment_fixed_size: 0
    .sgpr_count:     80
    .sgpr_spill_count: 0
    .symbol:         _Z27comm_manual_aosoa_constantsPK15HIP_vector_typeIfLj2EEPS0_S2_.kd
    .uniform_work_group_size: 1
    .uses_dynamic_stack: false
    .vgpr_count:     88
    .vgpr_spill_count: 0
    .wavefront_size: 64
  - .agpr_count:     0
    .args:
      - .actual_access:  read_only
        .address_space:  global
        .offset:         0
        .size:           8
        .value_kind:     global_buffer
      - .address_space:  global
        .offset:         8
        .size:           8
        .value_kind:     global_buffer
      - .actual_access:  read_only
        .address_space:  global
        .offset:         16
        .size:           8
        .value_kind:     global_buffer
      - .offset:         24
        .size:           4
        .value_kind:     hidden_block_count_x
      - .offset:         28
        .size:           4
        .value_kind:     hidden_block_count_y
      - .offset:         32
        .size:           4
        .value_kind:     hidden_block_count_z
      - .offset:         36
        .size:           2
        .value_kind:     hidden_group_size_x
      - .offset:         38
        .size:           2
        .value_kind:     hidden_group_size_y
      - .offset:         40
        .size:           2
        .value_kind:     hidden_group_size_z
      - .offset:         42
        .size:           2
        .value_kind:     hidden_remainder_x
      - .offset:         44
        .size:           2
        .value_kind:     hidden_remainder_y
      - .offset:         46
        .size:           2
        .value_kind:     hidden_remainder_z
      - .offset:         64
        .size:           8
        .value_kind:     hidden_global_offset_x
      - .offset:         72
        .size:           8
        .value_kind:     hidden_global_offset_y
      - .offset:         80
        .size:           8
        .value_kind:     hidden_global_offset_z
      - .offset:         88
        .size:           2
        .value_kind:     hidden_grid_dims
    .group_segment_fixed_size: 0
    .kernarg_segment_align: 8
    .kernarg_segment_size: 280
    .language:       OpenCL C
    .language_version:
      - 2
      - 0
    .max_flat_workgroup_size: 1024
    .name:           _Z32comm_manual_aosoa_constants_permPK15HIP_vector_typeIfLj2EEPS0_S2_
    .private_segment_fixed_size: 0
    .sgpr_count:     36
    .sgpr_spill_count: 0
    .symbol:         _Z32comm_manual_aosoa_constants_permPK15HIP_vector_typeIfLj2EEPS0_S2_.kd
    .uniform_work_group_size: 1
    .uses_dynamic_stack: false
    .vgpr_count:     98
    .vgpr_spill_count: 0
    .wavefront_size: 64
  - .agpr_count:     0
    .args:
      - .actual_access:  read_only
        .address_space:  global
        .offset:         0
        .size:           8
        .value_kind:     global_buffer
      - .address_space:  global
        .offset:         8
        .size:           8
        .value_kind:     global_buffer
      - .actual_access:  read_only
        .address_space:  global
        .offset:         16
        .size:           8
        .value_kind:     global_buffer
      - .offset:         24
        .size:           4
        .value_kind:     hidden_block_count_x
      - .offset:         28
        .size:           4
        .value_kind:     hidden_block_count_y
      - .offset:         32
        .size:           4
        .value_kind:     hidden_block_count_z
      - .offset:         36
        .size:           2
        .value_kind:     hidden_group_size_x
      - .offset:         38
        .size:           2
        .value_kind:     hidden_group_size_y
      - .offset:         40
        .size:           2
        .value_kind:     hidden_group_size_z
      - .offset:         42
        .size:           2
        .value_kind:     hidden_remainder_x
      - .offset:         44
        .size:           2
        .value_kind:     hidden_remainder_y
      - .offset:         46
        .size:           2
        .value_kind:     hidden_remainder_z
      - .offset:         64
        .size:           8
        .value_kind:     hidden_global_offset_x
      - .offset:         72
        .size:           8
        .value_kind:     hidden_global_offset_y
      - .offset:         80
        .size:           8
        .value_kind:     hidden_global_offset_z
      - .offset:         88
        .size:           2
        .value_kind:     hidden_grid_dims
    .group_segment_fixed_size: 0
    .kernarg_segment_align: 8
    .kernarg_segment_size: 280
    .language:       OpenCL C
    .language_version:
      - 2
      - 0
    .max_flat_workgroup_size: 1024
    .name:           _Z41comm_manual_aosoa_constants_perm_prefetchPK15HIP_vector_typeIfLj2EEPS0_S2_
    .private_segment_fixed_size: 0
    .sgpr_count:     80
    .sgpr_spill_count: 0
    .symbol:         _Z41comm_manual_aosoa_constants_perm_prefetchPK15HIP_vector_typeIfLj2EEPS0_S2_.kd
    .uniform_work_group_size: 1
    .uses_dynamic_stack: false
    .vgpr_count:     88
    .vgpr_spill_count: 0
    .wavefront_size: 64
  - .agpr_count:     0
    .args:
      - .actual_access:  read_only
        .address_space:  global
        .offset:         0
        .size:           8
        .value_kind:     global_buffer
      - .address_space:  global
        .offset:         8
        .size:           8
        .value_kind:     global_buffer
      - .actual_access:  read_only
        .address_space:  global
        .offset:         16
        .size:           8
        .value_kind:     global_buffer
      - .offset:         24
        .size:           4
        .value_kind:     by_value
      - .offset:         32
        .size:           4
        .value_kind:     hidden_block_count_x
      - .offset:         36
        .size:           4
        .value_kind:     hidden_block_count_y
      - .offset:         40
        .size:           4
        .value_kind:     hidden_block_count_z
      - .offset:         44
        .size:           2
        .value_kind:     hidden_group_size_x
      - .offset:         46
        .size:           2
        .value_kind:     hidden_group_size_y
      - .offset:         48
        .size:           2
        .value_kind:     hidden_group_size_z
      - .offset:         50
        .size:           2
        .value_kind:     hidden_remainder_x
      - .offset:         52
        .size:           2
        .value_kind:     hidden_remainder_y
      - .offset:         54
        .size:           2
        .value_kind:     hidden_remainder_z
      - .offset:         72
        .size:           8
        .value_kind:     hidden_global_offset_x
      - .offset:         80
        .size:           8
        .value_kind:     hidden_global_offset_y
      - .offset:         88
        .size:           8
        .value_kind:     hidden_global_offset_z
      - .offset:         96
        .size:           2
        .value_kind:     hidden_grid_dims
    .group_segment_fixed_size: 0
    .kernarg_segment_align: 8
    .kernarg_segment_size: 288
    .language:       OpenCL C
    .language_version:
      - 2
      - 0
    .max_flat_workgroup_size: 1024
    .name:           _Z24comm_manual_aosoa_directPK15HIP_vector_typeIfLj2EEPS0_S2_i
    .private_segment_fixed_size: 0
    .sgpr_count:     36
    .sgpr_spill_count: 0
    .symbol:         _Z24comm_manual_aosoa_directPK15HIP_vector_typeIfLj2EEPS0_S2_i.kd
    .uniform_work_group_size: 1
    .uses_dynamic_stack: false
    .vgpr_count:     44
    .vgpr_spill_count: 0
    .wavefront_size: 64
  - .agpr_count:     0
    .args:
      - .actual_access:  read_only
        .address_space:  global
        .offset:         0
        .size:           8
        .value_kind:     global_buffer
      - .address_space:  global
        .offset:         8
        .size:           8
        .value_kind:     global_buffer
      - .actual_access:  read_only
        .address_space:  global
        .offset:         16
        .size:           8
        .value_kind:     global_buffer
      - .offset:         24
        .size:           4
        .value_kind:     hidden_block_count_x
      - .offset:         28
        .size:           4
        .value_kind:     hidden_block_count_y
      - .offset:         32
        .size:           4
        .value_kind:     hidden_block_count_z
      - .offset:         36
        .size:           2
        .value_kind:     hidden_group_size_x
      - .offset:         38
        .size:           2
        .value_kind:     hidden_group_size_y
      - .offset:         40
        .size:           2
        .value_kind:     hidden_group_size_z
      - .offset:         42
        .size:           2
        .value_kind:     hidden_remainder_x
      - .offset:         44
        .size:           2
        .value_kind:     hidden_remainder_y
      - .offset:         46
        .size:           2
        .value_kind:     hidden_remainder_z
      - .offset:         64
        .size:           8
        .value_kind:     hidden_global_offset_x
      - .offset:         72
        .size:           8
        .value_kind:     hidden_global_offset_y
      - .offset:         80
        .size:           8
        .value_kind:     hidden_global_offset_z
      - .offset:         88
        .size:           2
        .value_kind:     hidden_grid_dims
    .group_segment_fixed_size: 0
    .kernarg_segment_align: 8
    .kernarg_segment_size: 280
    .language:       OpenCL C
    .language_version:
      - 2
      - 0
    .max_flat_workgroup_size: 1024
    .name:           _Z34comm_manual_aosoa_constants_directPK15HIP_vector_typeIfLj2EEPS0_S2_
    .private_segment_fixed_size: 0
    .sgpr_count:     92
    .sgpr_spill_count: 0
    .symbol:         _Z34comm_manual_aosoa_constants_directPK15HIP_vector_typeIfLj2EEPS0_S2_.kd
    .uniform_work_group_size: 1
    .uses_dynamic_stack: false
    .vgpr_count:     100
    .vgpr_spill_count: 0
    .wavefront_size: 64
  - .agpr_count:     0
    .args:
      - .actual_access:  read_only
        .address_space:  global
        .offset:         0
        .size:           8
        .value_kind:     global_buffer
      - .address_space:  global
        .offset:         8
        .size:           8
        .value_kind:     global_buffer
      - .actual_access:  read_only
        .address_space:  global
        .offset:         16
        .size:           8
        .value_kind:     global_buffer
      - .offset:         24
        .size:           4
        .value_kind:     hidden_block_count_x
      - .offset:         28
        .size:           4
        .value_kind:     hidden_block_count_y
      - .offset:         32
        .size:           4
        .value_kind:     hidden_block_count_z
      - .offset:         36
        .size:           2
        .value_kind:     hidden_group_size_x
      - .offset:         38
        .size:           2
        .value_kind:     hidden_group_size_y
      - .offset:         40
        .size:           2
        .value_kind:     hidden_group_size_z
      - .offset:         42
        .size:           2
        .value_kind:     hidden_remainder_x
      - .offset:         44
        .size:           2
        .value_kind:     hidden_remainder_y
      - .offset:         46
        .size:           2
        .value_kind:     hidden_remainder_z
      - .offset:         64
        .size:           8
        .value_kind:     hidden_global_offset_x
      - .offset:         72
        .size:           8
        .value_kind:     hidden_global_offset_y
      - .offset:         80
        .size:           8
        .value_kind:     hidden_global_offset_z
      - .offset:         88
        .size:           2
        .value_kind:     hidden_grid_dims
    .group_segment_fixed_size: 0
    .kernarg_segment_align: 8
    .kernarg_segment_size: 280
    .language:       OpenCL C
    .language_version:
      - 2
      - 0
    .max_flat_workgroup_size: 1024
    .name:           _Z43comm_manual_aosoa_constants_direct_prefetchPK15HIP_vector_typeIfLj2EEPS0_S2_
    .private_segment_fixed_size: 0
    .sgpr_count:     92
    .sgpr_spill_count: 0
    .symbol:         _Z43comm_manual_aosoa_constants_direct_prefetchPK15HIP_vector_typeIfLj2EEPS0_S2_.kd
    .uniform_work_group_size: 1
    .uses_dynamic_stack: false
    .vgpr_count:     100
    .vgpr_spill_count: 0
    .wavefront_size: 64
  - .agpr_count:     0
    .args:
      - .actual_access:  read_only
        .address_space:  global
        .offset:         0
        .size:           8
        .value_kind:     global_buffer
      - .address_space:  global
        .offset:         8
        .size:           8
        .value_kind:     global_buffer
      - .actual_access:  read_only
        .address_space:  global
        .offset:         16
        .size:           8
        .value_kind:     global_buffer
      - .offset:         24
        .size:           4
        .value_kind:     hidden_block_count_x
      - .offset:         28
        .size:           4
        .value_kind:     hidden_block_count_y
      - .offset:         32
        .size:           4
        .value_kind:     hidden_block_count_z
      - .offset:         36
        .size:           2
        .value_kind:     hidden_group_size_x
      - .offset:         38
        .size:           2
        .value_kind:     hidden_group_size_y
      - .offset:         40
        .size:           2
        .value_kind:     hidden_group_size_z
      - .offset:         42
        .size:           2
        .value_kind:     hidden_remainder_x
      - .offset:         44
        .size:           2
        .value_kind:     hidden_remainder_y
      - .offset:         46
        .size:           2
        .value_kind:     hidden_remainder_z
      - .offset:         64
        .size:           8
        .value_kind:     hidden_global_offset_x
      - .offset:         72
        .size:           8
        .value_kind:     hidden_global_offset_y
      - .offset:         80
        .size:           8
        .value_kind:     hidden_global_offset_z
      - .offset:         88
        .size:           2
        .value_kind:     hidden_grid_dims
    .group_segment_fixed_size: 0
    .kernarg_segment_align: 8
    .kernarg_segment_size: 280
    .language:       OpenCL C
    .language_version:
      - 2
      - 0
    .max_flat_workgroup_size: 1024
    .name:           _Z39comm_manual_aosoa_constants_direct_permPK15HIP_vector_typeIfLj2EEPS0_S2_
    .private_segment_fixed_size: 0
    .sgpr_count:     36
    .sgpr_spill_count: 0
    .symbol:         _Z39comm_manual_aosoa_constants_direct_permPK15HIP_vector_typeIfLj2EEPS0_S2_.kd
    .uniform_work_group_size: 1
    .uses_dynamic_stack: false
    .vgpr_count:     98
    .vgpr_spill_count: 0
    .wavefront_size: 64
  - .agpr_count:     0
    .args:
      - .actual_access:  read_only
        .address_space:  global
        .offset:         0
        .size:           8
        .value_kind:     global_buffer
      - .address_space:  global
        .offset:         8
        .size:           8
        .value_kind:     global_buffer
      - .actual_access:  read_only
        .address_space:  global
        .offset:         16
        .size:           8
        .value_kind:     global_buffer
      - .offset:         24
        .size:           4
        .value_kind:     by_value
    .group_segment_fixed_size: 1972
    .kernarg_segment_align: 8
    .kernarg_segment_size: 28
    .language:       OpenCL C
    .language_version:
      - 2
      - 0
    .max_flat_workgroup_size: 1024
    .name:           _Z16final_gpu_kernelPK15HIP_vector_typeIfLj2EEPS0_S2_i
    .private_segment_fixed_size: 0
    .sgpr_count:     16
    .sgpr_spill_count: 0
    .symbol:         _Z16final_gpu_kernelPK15HIP_vector_typeIfLj2EEPS0_S2_i.kd
    .uniform_work_group_size: 1
    .uses_dynamic_stack: false
    .vgpr_count:     64
    .vgpr_spill_count: 0
    .wavefront_size: 64
amdhsa.target:   amdgcn-amd-amdhsa--gfx90a
amdhsa.version:
  - 1
  - 2
...

	.end_amdgpu_metadata
